;; amdgpu-corpus repo=ROCm/rocFFT kind=compiled arch=gfx950 opt=O3
	.text
	.amdgcn_target "amdgcn-amd-amdhsa--gfx950"
	.amdhsa_code_object_version 6
	.protected	bluestein_single_back_len420_dim1_sp_op_CI_CI ; -- Begin function bluestein_single_back_len420_dim1_sp_op_CI_CI
	.globl	bluestein_single_back_len420_dim1_sp_op_CI_CI
	.p2align	8
	.type	bluestein_single_back_len420_dim1_sp_op_CI_CI,@function
bluestein_single_back_len420_dim1_sp_op_CI_CI: ; @bluestein_single_back_len420_dim1_sp_op_CI_CI
; %bb.0:
	s_load_dwordx4 s[8:11], s[0:1], 0x28
	v_mul_u32_u24_e32 v1, 0x445, v0
	v_add_u32_sdwa v60, s2, v1 dst_sel:DWORD dst_unused:UNUSED_PAD src0_sel:DWORD src1_sel:WORD_1
	v_mov_b32_e32 v61, 0
	s_waitcnt lgkmcnt(0)
	v_cmp_gt_u64_e32 vcc, s[8:9], v[60:61]
	s_and_saveexec_b64 s[2:3], vcc
	s_cbranch_execz .LBB0_23
; %bb.1:
	s_load_dwordx2 s[2:3], s[0:1], 0x0
	s_load_dwordx2 s[8:9], s[0:1], 0x38
	v_mov_b32_e32 v2, 60
	v_mul_lo_u16_sdwa v1, v1, v2 dst_sel:DWORD dst_unused:UNUSED_PAD src0_sel:WORD_1 src1_sel:DWORD
	v_sub_u16_e32 v90, v0, v1
	v_cmp_gt_u16_e32 vcc, 42, v90
	v_lshlrev_b32_e32 v61, 3, v90
	s_and_saveexec_b64 s[12:13], vcc
	s_cbranch_execz .LBB0_3
; %bb.2:
	s_load_dwordx2 s[4:5], s[0:1], 0x18
	v_mov_b32_e32 v0, s10
	v_mov_b32_e32 v1, s11
	;; [unrolled: 1-line block ×3, first 2 shown]
	v_add_u32_e32 v42, 0x400, v61
	s_waitcnt lgkmcnt(0)
	s_load_dwordx4 s[4:7], s[4:5], 0x0
	s_waitcnt lgkmcnt(0)
	v_mad_u64_u32 v[2:3], s[10:11], s6, v60, 0
	v_mad_u64_u32 v[4:5], s[10:11], s4, v90, 0
	v_mov_b32_e32 v6, v3
	v_mov_b32_e32 v8, v5
	v_mad_u64_u32 v[6:7], s[6:7], s7, v60, v[6:7]
	v_mov_b32_e32 v3, v6
	v_mad_u64_u32 v[6:7], s[6:7], s5, v90, v[8:9]
	v_mov_b32_e32 v5, v6
	v_lshl_add_u64 v[0:1], v[2:3], 3, v[0:1]
	v_lshl_add_u64 v[0:1], v[4:5], 3, v[0:1]
	global_load_dwordx2 v[2:3], v[0:1], off
	v_mad_u64_u32 v[0:1], s[6:7], s4, v38, v[0:1]
	s_mul_i32 s10, s5, 0x150
	v_add_u32_e32 v1, s10, v1
	global_load_dwordx2 v[4:5], v[0:1], off
	global_load_dwordx2 v[6:7], v61, s[2:3]
	v_mad_u64_u32 v[0:1], s[6:7], s4, v38, v[0:1]
	v_add_u32_e32 v1, s10, v1
	v_mad_u64_u32 v[10:11], s[6:7], s4, v38, v[0:1]
	v_add_u32_e32 v11, s10, v11
	global_load_dwordx2 v[8:9], v61, s[2:3] offset:336
	global_load_dwordx2 v[12:13], v61, s[2:3] offset:672
	;; [unrolled: 1-line block ×3, first 2 shown]
	global_load_dwordx2 v[16:17], v[0:1], off
	v_mad_u64_u32 v[0:1], s[6:7], s4, v38, v[10:11]
	v_add_u32_e32 v1, s10, v1
	global_load_dwordx2 v[18:19], v[10:11], off
	global_load_dwordx2 v[20:21], v[0:1], off
	v_mad_u64_u32 v[0:1], s[6:7], s4, v38, v[0:1]
	v_add_u32_e32 v1, s10, v1
	global_load_dwordx2 v[10:11], v61, s[2:3] offset:1344
	global_load_dwordx2 v[22:23], v[0:1], off
	v_mad_u64_u32 v[0:1], s[6:7], s4, v38, v[0:1]
	v_add_u32_e32 v1, s10, v1
	global_load_dwordx2 v[26:27], v[0:1], off
	v_mad_u64_u32 v[0:1], s[6:7], s4, v38, v[0:1]
	global_load_dwordx2 v[24:25], v61, s[2:3] offset:1680
	global_load_dwordx2 v[28:29], v61, s[2:3] offset:2016
	v_add_u32_e32 v1, s10, v1
	global_load_dwordx2 v[30:31], v[0:1], off
	global_load_dwordx2 v[32:33], v61, s[2:3] offset:2352
	v_mad_u64_u32 v[0:1], s[6:7], s4, v38, v[0:1]
	v_add_u32_e32 v1, s10, v1
	global_load_dwordx2 v[34:35], v[0:1], off
	global_load_dwordx2 v[36:37], v61, s[2:3] offset:2688
	v_mad_u64_u32 v[0:1], s[4:5], s4, v38, v[0:1]
	v_add_u32_e32 v1, s10, v1
	global_load_dwordx2 v[38:39], v61, s[2:3] offset:3024
	global_load_dwordx2 v[40:41], v[0:1], off
	s_waitcnt vmcnt(17)
	v_mul_f32_e32 v0, v3, v7
	v_mul_f32_e32 v1, v2, v7
	v_fmac_f32_e32 v0, v2, v6
	v_fma_f32 v1, v3, v6, -v1
	s_waitcnt vmcnt(16)
	v_mul_f32_e32 v2, v5, v9
	v_mul_f32_e32 v3, v4, v9
	v_fmac_f32_e32 v2, v4, v8
	v_fma_f32 v3, v5, v8, -v3
	ds_write2_b64 v61, v[0:1], v[2:3] offset1:42
	s_waitcnt vmcnt(13)
	v_mul_f32_e32 v0, v17, v13
	v_mul_f32_e32 v1, v16, v13
	s_waitcnt vmcnt(12)
	v_mul_f32_e32 v2, v19, v15
	v_mul_f32_e32 v3, v18, v15
	v_fmac_f32_e32 v0, v16, v12
	v_fma_f32 v1, v17, v12, -v1
	v_fmac_f32_e32 v2, v18, v14
	v_fma_f32 v3, v19, v14, -v3
	ds_write2_b64 v61, v[0:1], v[2:3] offset0:84 offset1:126
	s_waitcnt vmcnt(10)
	v_mul_f32_e32 v0, v21, v11
	v_mul_f32_e32 v1, v20, v11
	s_waitcnt vmcnt(7)
	v_mul_f32_e32 v2, v23, v25
	v_mul_f32_e32 v3, v22, v25
	v_fmac_f32_e32 v0, v20, v10
	v_fma_f32 v1, v21, v10, -v1
	v_fmac_f32_e32 v2, v22, v24
	v_fma_f32 v3, v23, v24, -v3
	ds_write2_b64 v61, v[0:1], v[2:3] offset0:168 offset1:210
	;; [unrolled: 11-line block ×3, first 2 shown]
	s_waitcnt vmcnt(2)
	v_mul_f32_e32 v0, v35, v37
	v_mul_f32_e32 v1, v34, v37
	s_waitcnt vmcnt(0)
	v_mul_f32_e32 v2, v41, v39
	v_mul_f32_e32 v3, v40, v39
	v_fmac_f32_e32 v0, v34, v36
	v_fma_f32 v1, v35, v36, -v1
	v_fmac_f32_e32 v2, v40, v38
	v_fma_f32 v3, v41, v38, -v3
	v_add_u32_e32 v4, 0x800, v61
	ds_write2_b64 v4, v[0:1], v[2:3] offset0:80 offset1:122
.LBB0_3:
	s_or_b64 exec, exec, s[12:13]
	s_load_dwordx2 s[4:5], s[0:1], 0x20
	s_load_dwordx2 s[10:11], s[0:1], 0x8
	s_waitcnt lgkmcnt(0)
	; wave barrier
	s_waitcnt lgkmcnt(0)
                                        ; implicit-def: $vgpr4
                                        ; implicit-def: $vgpr16
                                        ; implicit-def: $vgpr12
                                        ; implicit-def: $vgpr8
                                        ; implicit-def: $vgpr0
	s_and_saveexec_b64 s[0:1], vcc
	s_cbranch_execz .LBB0_5
; %bb.4:
	ds_read2_b64 v[0:3], v61 offset1:42
	ds_read2_b64 v[8:11], v61 offset0:84 offset1:126
	ds_read2_b64 v[12:15], v61 offset0:168 offset1:210
	v_add_u32_e32 v4, 0x400, v61
	v_add_u32_e32 v16, 0x800, v61
	ds_read2_b64 v[4:7], v4 offset0:124 offset1:166
	ds_read2_b64 v[16:19], v16 offset0:80 offset1:122
.LBB0_5:
	s_or_b64 exec, exec, s[0:1]
	s_waitcnt lgkmcnt(0)
	v_pk_add_f32 v[30:31], v[12:13], v[4:5] neg_lo:[0,1] neg_hi:[0,1]
	v_pk_add_f32 v[20:21], v[16:17], v[8:9]
	s_mov_b32 s6, 0x3f737871
	s_mov_b32 s0, 0x3f167918
	v_pk_add_f32 v[28:29], v[8:9], v[16:17] neg_lo:[0,1] neg_hi:[0,1]
	v_pk_add_f32 v[22:23], v[12:13], v[8:9] neg_lo:[0,1] neg_hi:[0,1]
	;; [unrolled: 1-line block ×3, first 2 shown]
	v_pk_fma_f32 v[20:21], v[20:21], 0.5, v[0:1] op_sel_hi:[1,0,1] neg_lo:[1,0,0] neg_hi:[1,0,0]
	v_pk_mul_f32 v[40:41], v[30:31], s[6:7] op_sel_hi:[1,0]
	s_mov_b32 s1, 0xbf167918
	v_pk_add_f32 v[26:27], v[14:15], v[6:7] neg_lo:[0,1] neg_hi:[0,1]
	v_pk_add_f32 v[34:35], v[10:11], v[18:19]
	v_pk_mul_f32 v[42:43], v[28:29], s[0:1] op_sel_hi:[1,0]
	v_pk_add_f32 v[24:25], v[24:25], v[22:23]
	v_pk_add_f32 v[22:23], v[20:21], v[40:41] op_sel:[0,1] op_sel_hi:[1,0] neg_lo:[0,1] neg_hi:[0,1]
	v_pk_add_f32 v[20:21], v[20:21], v[40:41] op_sel:[0,1] op_sel_hi:[1,0]
	v_pk_add_f32 v[32:33], v[10:11], v[18:19] neg_lo:[0,1] neg_hi:[0,1]
	v_pk_add_f32 v[36:37], v[14:15], v[10:11] neg_lo:[0,1] neg_hi:[0,1]
	;; [unrolled: 1-line block ×3, first 2 shown]
	v_pk_add_f32 v[40:41], v[20:21], v[42:43] op_sel:[0,1] op_sel_hi:[1,0] neg_lo:[0,1] neg_hi:[0,1]
	v_pk_add_f32 v[42:43], v[22:23], v[42:43] op_sel:[0,1] op_sel_hi:[1,0]
	v_pk_fma_f32 v[22:23], v[34:35], 0.5, v[2:3] op_sel_hi:[1,0,1] neg_lo:[1,0,0] neg_hi:[1,0,0]
	v_pk_mul_f32 v[34:35], v[26:27], s[6:7] op_sel_hi:[1,0]
	v_pk_mul_f32 v[44:45], v[32:33], s[0:1] op_sel_hi:[1,0]
	v_pk_add_f32 v[36:37], v[36:37], v[38:39]
	v_pk_add_f32 v[38:39], v[22:23], v[34:35] op_sel:[0,1] op_sel_hi:[1,0] neg_lo:[0,1] neg_hi:[0,1]
	v_pk_add_f32 v[22:23], v[22:23], v[34:35] op_sel:[0,1] op_sel_hi:[1,0]
	v_pk_add_f32 v[38:39], v[38:39], v[44:45] op_sel:[0,1] op_sel_hi:[1,0]
	v_pk_add_f32 v[34:35], v[22:23], v[44:45] op_sel:[0,1] op_sel_hi:[1,0] neg_lo:[0,1] neg_hi:[0,1]
	s_mov_b32 s12, 0x3e9e377a
	v_mov_b32_e32 v23, v35
	v_mov_b32_e32 v35, v39
	;; [unrolled: 1-line block ×3, first 2 shown]
	v_pk_fma_f32 v[34:35], v[36:37], s[12:13], v[34:35] op_sel_hi:[1,0,1]
	v_pk_fma_f32 v[44:45], v[36:37], s[12:13], v[22:23] op_sel_hi:[1,0,1]
	s_mov_b32 s14, 0xbf737871
	s_mov_b32 s15, s6
	v_pk_mul_f32 v[36:37], v[34:35], s[12:13] op_sel_hi:[1,0]
	v_mov_b32_e32 v20, v42
	v_mov_b32_e32 v21, v41
	;; [unrolled: 1-line block ×3, first 2 shown]
	v_pk_fma_f32 v[42:43], v[34:35], s[14:15], v[36:37] op_sel:[0,0,1] op_sel_hi:[1,1,0] neg_lo:[0,0,1] neg_hi:[0,0,1]
	v_pk_add_f32 v[34:35], v[4:5], v[12:13]
	v_pk_mul_f32 v[28:29], v[28:29], s[6:7] op_sel_hi:[1,0]
	v_pk_fma_f32 v[34:35], v[34:35], 0.5, v[0:1] op_sel_hi:[1,0,1] neg_lo:[1,0,0] neg_hi:[1,0,0]
	v_pk_fma_f32 v[20:21], v[24:25], s[12:13], v[20:21] op_sel_hi:[1,0,1]
	v_pk_fma_f32 v[24:25], v[24:25], s[12:13], v[40:41] op_sel_hi:[1,0,1]
	v_pk_mul_f32 v[48:49], v[30:31], s[0:1] op_sel_hi:[1,0]
	v_pk_add_f32 v[30:31], v[8:9], v[12:13] neg_lo:[0,1] neg_hi:[0,1]
	v_pk_add_f32 v[36:37], v[16:17], v[4:5] neg_lo:[0,1] neg_hi:[0,1]
	v_pk_add_f32 v[38:39], v[34:35], v[28:29] op_sel:[0,1] op_sel_hi:[1,0] neg_lo:[0,1] neg_hi:[0,1]
	v_pk_add_f32 v[40:41], v[34:35], v[28:29] op_sel:[0,1] op_sel_hi:[1,0]
	v_pk_add_f32 v[50:51], v[36:37], v[30:31]
	v_pk_add_f32 v[28:29], v[38:39], v[48:49] op_sel:[0,1] op_sel_hi:[1,0] neg_lo:[0,1] neg_hi:[0,1]
	v_pk_add_f32 v[30:31], v[40:41], v[48:49] op_sel:[0,1] op_sel_hi:[1,0]
	v_pk_mul_f32 v[46:47], v[44:45], s[6:7] op_sel_hi:[1,0]
	v_mov_b32_e32 v29, v31
	v_pk_add_f32 v[30:31], v[14:15], v[6:7]
	v_pk_fma_f32 v[22:23], v[44:45], s[12:13], v[46:47] op_sel:[0,0,1] op_sel_hi:[1,0,0]
	v_pk_fma_f32 v[44:45], v[44:45], s[12:13], v[46:47] op_sel:[0,0,1] op_sel_hi:[1,0,0] neg_lo:[0,0,1] neg_hi:[0,0,1]
	v_pk_fma_f32 v[30:31], v[30:31], 0.5, v[2:3] op_sel_hi:[1,0,1] neg_lo:[1,0,0] neg_hi:[1,0,0]
	v_mov_b32_e32 v23, v45
	v_pk_add_f32 v[34:35], v[10:11], v[14:15] neg_lo:[0,1] neg_hi:[0,1]
	v_pk_add_f32 v[36:37], v[18:19], v[6:7] neg_lo:[0,1] neg_hi:[0,1]
	v_pk_fma_f32 v[44:45], v[32:33], s[6:7], v[30:31] op_sel:[0,0,1] op_sel_hi:[1,0,0]
	v_pk_fma_f32 v[46:47], v[32:33], s[6:7], v[30:31] op_sel:[0,0,1] op_sel_hi:[1,0,0] neg_lo:[1,0,0] neg_hi:[1,0,0]
	v_pk_add_f32 v[34:35], v[34:35], v[36:37]
	v_pk_fma_f32 v[30:31], v[26:27], s[0:1], v[44:45] op_sel_hi:[1,0,1]
	v_pk_fma_f32 v[32:33], v[26:27], s[0:1], v[46:47] op_sel_hi:[1,0,1] neg_lo:[1,0,0] neg_hi:[1,0,0]
	v_pk_mul_f32 v[52:53], v[34:35], s[12:13] op_sel_hi:[1,0]
	v_mov_b32_e32 v31, v33
	v_pk_add_f32 v[30:31], v[52:53], v[30:31] op_sel:[1,0] op_sel_hi:[0,1]
	s_mov_b32 s14, 0x3f4f1bbd
	v_pk_mul_f32 v[32:33], v[30:31], s[14:15] op_sel_hi:[1,0]
	v_pk_fma_f32 v[28:29], v[50:51], s[12:13], v[28:29] op_sel_hi:[1,0,1]
	v_pk_fma_f32 v[36:37], v[30:31], s[0:1], v[32:33] op_sel:[0,0,1] op_sel_hi:[1,1,0] neg_lo:[0,0,1] neg_hi:[0,0,1]
	v_pk_add_f32 v[30:31], v[20:21], v[22:23] neg_lo:[0,1] neg_hi:[0,1]
	v_pk_add_f32 v[32:33], v[24:25], v[42:43] op_sel:[0,1] op_sel_hi:[1,0] neg_lo:[0,1] neg_hi:[0,1]
	v_pk_add_f32 v[34:35], v[28:29], v[36:37] neg_lo:[0,1] neg_hi:[0,1]
	v_mul_lo_u16_e32 v91, 10, v90
	s_waitcnt lgkmcnt(0)
	; wave barrier
	s_and_saveexec_b64 s[6:7], vcc
	s_cbranch_execz .LBB0_7
; %bb.6:
	v_pk_add_f32 v[0:1], v[8:9], v[0:1]
	v_pk_mul_f32 v[26:27], v[26:27], s[0:1] op_sel_hi:[1,0]
	v_pk_add_f32 v[0:1], v[12:13], v[0:1]
	v_pk_add_f32 v[8:9], v[46:47], v[26:27] neg_lo:[0,1] neg_hi:[0,1]
	v_pk_add_f32 v[0:1], v[4:5], v[0:1]
	v_mov_b32_e32 v54, v43
	v_pk_add_f32 v[4:5], v[16:17], v[0:1]
	v_pk_add_f32 v[0:1], v[10:11], v[2:3]
	;; [unrolled: 1-line block ×3, first 2 shown]
	v_mov_b32_e32 v55, v42
	v_mov_b32_e32 v42, v49
	;; [unrolled: 1-line block ×3, first 2 shown]
	v_pk_mul_f32 v[48:49], v[50:51], s[12:13] op_sel_hi:[1,0]
	v_mov_b32_e32 v50, v53
	v_mov_b32_e32 v51, v52
	;; [unrolled: 1-line block ×3, first 2 shown]
	v_pk_add_f32 v[2:3], v[50:51], v[8:9]
	v_pk_add_f32 v[8:9], v[40:41], v[42:43]
	v_pk_add_f32 v[10:11], v[38:39], v[42:43] neg_lo:[0,1] neg_hi:[0,1]
	v_pk_add_f32 v[0:1], v[14:15], v[0:1]
	v_mov_b32_e32 v9, v11
	v_pk_mul_f32 v[10:11], v[2:3], s[0:1] op_sel_hi:[1,0]
	v_pk_add_f32 v[0:1], v[6:7], v[0:1]
	v_pk_fma_f32 v[12:13], v[2:3], s[14:15], v[10:11] op_sel:[0,0,1] op_sel_hi:[1,0,0]
	v_pk_fma_f32 v[2:3], v[2:3], s[14:15], v[10:11] op_sel:[0,0,1] op_sel_hi:[1,0,0] neg_lo:[0,0,1] neg_hi:[0,0,1]
	v_pk_add_f32 v[6:7], v[18:19], v[0:1]
	v_pk_add_f32 v[8:9], v[48:49], v[8:9]
	v_mov_b32_e32 v10, v13
	v_mov_b32_e32 v11, v2
	v_lshlrev_b32_e32 v52, 3, v91
	v_pk_add_f32 v[0:1], v[6:7], v[4:5]
	v_pk_add_f32 v[2:3], v[8:9], v[10:11]
	ds_write_b128 v52, v[0:3]
	v_pk_add_f32 v[0:1], v[20:21], v[22:23]
	v_pk_add_f32 v[2:3], v[24:25], v[54:55]
	ds_write_b128 v52, v[0:3] offset:16
	v_pk_add_f32 v[0:1], v[28:29], v[36:37]
	v_pk_add_f32 v[2:3], v[4:5], v[6:7] neg_lo:[0,1] neg_hi:[0,1]
	v_pk_add_f32 v[28:29], v[8:9], v[10:11] neg_lo:[0,1] neg_hi:[0,1]
	ds_write_b128 v52, v[0:3] offset:32
	ds_write_b128 v52, v[28:31] offset:48
	;; [unrolled: 1-line block ×3, first 2 shown]
.LBB0_7:
	s_or_b64 exec, exec, s[6:7]
	s_movk_i32 s0, 0xcd
	v_mul_lo_u16_sdwa v0, v90, s0 dst_sel:DWORD dst_unused:UNUSED_PAD src0_sel:BYTE_0 src1_sel:DWORD
	v_lshrrev_b16_e32 v56, 11, v0
	v_mul_lo_u16_e32 v0, 10, v56
	v_sub_u16_e32 v0, v90, v0
	v_and_b32_e32 v57, 0xff, v0
	v_mul_u32_u24_e32 v0, 6, v57
	v_lshlrev_b32_e32 v12, 3, v0
	s_load_dwordx4 s[4:7], s[4:5], 0x0
	s_waitcnt lgkmcnt(0)
	; wave barrier
	s_waitcnt lgkmcnt(0)
	global_load_dwordx4 v[4:7], v12, s[10:11]
	global_load_dwordx4 v[8:11], v12, s[10:11] offset:16
	global_load_dwordx4 v[0:3], v12, s[10:11] offset:32
	ds_read2_b64 v[14:17], v61 offset1:60
	ds_read2_b64 v[18:21], v61 offset0:120 offset1:180
	v_add_u32_e32 v12, 0x400, v61
	ds_read2_b64 v[22:25], v12 offset0:112 offset1:172
	ds_read_b64 v[26:27], v61 offset:2880
	s_mov_b32 s14, 0x3d64c772
	s_mov_b32 s16, 0x3eae86e6
	;; [unrolled: 1-line block ×10, first 2 shown]
	s_waitcnt lgkmcnt(0)
	; wave barrier
	s_waitcnt lgkmcnt(0)
	v_add_u32_e32 v66, 0x800, v61
	s_waitcnt vmcnt(2)
	v_mul_f32_e32 v13, v19, v7
	s_waitcnt vmcnt(1)
	v_mul_f32_e32 v37, v20, v9
	v_mul_f32_e32 v38, v21, v9
	;; [unrolled: 1-line block ×3, first 2 shown]
	s_waitcnt vmcnt(0)
	v_mul_f32_e32 v44, v25, v1
	v_mul_f32_e32 v40, v24, v1
	v_mov_b32_e32 v36, v3
	v_fmac_f32_e32 v37, v21, v8
	v_mul_f32_e32 v28, v18, v7
	v_mul_f32_e32 v39, v22, v11
	v_pk_mul_f32 v[42:43], v[16:17], v[4:5] op_sel:[0,1]
	v_fma_f32 v29, v18, v6, -v13
	v_fma_f32 v18, v20, v8, -v38
	;; [unrolled: 1-line block ×4, first 2 shown]
	v_fmac_f32_e32 v40, v25, v0
	v_pk_mul_f32 v[24:25], v[26:27], v[36:37] op_sel_hi:[1,0]
	v_fmac_f32_e32 v28, v19, v6
	v_fmac_f32_e32 v39, v23, v10
	v_pk_fma_f32 v[22:23], v[16:17], v[4:5], v[42:43] op_sel:[1,0,0] op_sel_hi:[0,1,1]
	v_pk_fma_f32 v[16:17], v[16:17], v[4:5], v[42:43] op_sel:[1,0,0] op_sel_hi:[0,0,1] neg_lo:[0,0,1] neg_hi:[0,0,1]
	v_pk_fma_f32 v[42:43], v[26:27], v[2:3], v[24:25] op_sel:[1,0,0] op_sel_hi:[0,1,1]
	v_pk_fma_f32 v[24:25], v[26:27], v[2:3], v[24:25] op_sel:[1,0,0] op_sel_hi:[0,0,1] neg_lo:[0,0,1] neg_hi:[0,0,1]
	v_add_f32_e32 v16, v29, v41
	v_mov_b32_e32 v23, v17
	v_pk_add_f32 v[26:27], v[28:29], v[40:41] neg_lo:[0,1] neg_hi:[0,1]
	v_mov_b32_e32 v19, v28
	v_mov_b32_e32 v21, v40
	;; [unrolled: 1-line block ×8, first 2 shown]
	v_pk_add_f32 v[18:19], v[18:19], v[20:21]
	v_mov_b32_e32 v38, v25
	v_pk_add_f32 v[20:21], v[28:29], v[40:41] neg_lo:[0,1] neg_hi:[0,1]
	v_pk_add_f32 v[40:41], v[22:23], v[42:43]
	v_pk_add_f32 v[36:37], v[36:37], v[38:39]
	v_mov_b32_e32 v13, v40
	v_pk_add_f32 v[22:23], v[22:23], v[42:43] neg_lo:[0,1] neg_hi:[0,1]
	v_mov_b32_e32 v28, v18
	v_mov_b32_e32 v29, v40
	;; [unrolled: 1-line block ×3, first 2 shown]
	v_pk_add_f32 v[50:51], v[18:19], v[12:13]
	v_mov_b32_e32 v24, v26
	v_pk_add_f32 v[38:39], v[20:21], v[26:27]
	v_mov_b32_e32 v42, v20
	v_mov_b32_e32 v25, v21
	;; [unrolled: 1-line block ×4, first 2 shown]
	v_add_f32_e32 v46, v16, v36
	v_mov_b32_e32 v43, v23
	v_mov_b32_e32 v44, v22
	;; [unrolled: 1-line block ×3, first 2 shown]
	v_pk_add_f32 v[28:29], v[28:29], v[16:17] neg_lo:[0,1] neg_hi:[0,1]
	v_mov_b32_e32 v50, v18
	v_pk_add_f32 v[24:25], v[42:43], v[24:25] neg_lo:[0,1] neg_hi:[0,1]
	v_pk_add_f32 v[20:21], v[44:45], v[20:21] neg_lo:[0,1] neg_hi:[0,1]
	v_pk_mul_f32 v[44:45], v[28:29], s[14:15]
	v_pk_add_f32 v[28:29], v[46:47], v[50:51]
	v_pk_add_f32 v[48:49], v[36:37], v[18:19] neg_lo:[0,1] neg_hi:[0,1]
	v_pk_mul_f32 v[24:25], v[24:25], s[20:21]
	v_pk_add_f32 v[14:15], v[14:15], v[28:29]
	v_pk_add_f32 v[38:39], v[38:39], v[22:23]
	v_pk_mul_f32 v[42:43], v[48:49], s[18:19]
	v_pk_mul_f32 v[54:55], v[20:21], s[16:17]
	v_pk_fma_f32 v[46:47], v[48:49], s[18:19], v[44:45]
	v_pk_fma_f32 v[20:21], v[20:21], s[16:17], v[24:25]
	v_pk_fma_f32 v[48:49], v[28:29], s[12:13], v[14:15] op_sel_hi:[1,0,1]
	v_pk_fma_f32 v[20:21], v[38:39], s[0:1], v[20:21] op_sel_hi:[1,0,1]
	v_pk_add_f32 v[46:47], v[46:47], v[48:49]
	v_mul_u32_u24_e32 v13, 0x46, v56
	v_pk_add_f32 v[28:29], v[46:47], v[20:21] neg_lo:[0,1] neg_hi:[0,1]
	v_pk_add_f32 v[52:53], v[46:47], v[20:21]
	v_add_lshl_u32 v92, v13, v57, 3
	v_mov_b32_e32 v20, v52
	v_mov_b32_e32 v21, v29
	v_mov_b32_e32 v17, v19
	v_mov_b32_e32 v37, v40
	ds_write2_b64 v92, v[14:15], v[20:21] offset1:10
	v_pk_add_f32 v[14:15], v[16:17], v[36:37] neg_lo:[0,1] neg_hi:[0,1]
	v_pk_add_f32 v[16:17], v[26:27], v[22:23] neg_lo:[0,1] neg_hi:[0,1]
	s_mov_b32 s12, 0x3f3bfb3b
	s_mov_b32 s14, 0x3f5ff5aa
	v_mov_b32_e32 v18, v42
	v_mov_b32_e32 v19, v45
	;; [unrolled: 1-line block ×6, first 2 shown]
	v_pk_fma_f32 v[18:19], v[14:15], s[12:13], v[18:19] op_sel_hi:[1,0,1] neg_lo:[1,0,1] neg_hi:[1,0,1]
	v_pk_fma_f32 v[20:21], v[16:17], s[14:15], v[20:21] op_sel_hi:[1,0,1] neg_lo:[1,0,1] neg_hi:[1,0,1]
	;; [unrolled: 1-line block ×4, first 2 shown]
	v_pk_add_f32 v[18:19], v[18:19], v[48:49]
	v_pk_fma_f32 v[20:21], v[38:39], s[0:1], v[20:21] op_sel_hi:[1,0,1]
	v_pk_add_f32 v[14:15], v[14:15], v[48:49]
	v_pk_fma_f32 v[16:17], v[38:39], s[0:1], v[16:17] op_sel_hi:[1,0,1]
	v_pk_add_f32 v[22:23], v[18:19], v[20:21]
	v_pk_add_f32 v[18:19], v[18:19], v[20:21] neg_lo:[0,1] neg_hi:[0,1]
	v_pk_add_f32 v[24:25], v[14:15], v[16:17] neg_lo:[0,1] neg_hi:[0,1]
	v_pk_add_f32 v[14:15], v[14:15], v[16:17]
	v_mov_b32_e32 v20, v22
	v_mov_b32_e32 v21, v19
	;; [unrolled: 1-line block ×7, first 2 shown]
	ds_write2_b64 v92, v[20:21], v[16:17] offset0:20 offset1:30
	ds_write2_b64 v92, v[14:15], v[18:19] offset0:40 offset1:50
	ds_write_b64 v92, v[28:29] offset:480
	s_waitcnt lgkmcnt(0)
	; wave barrier
	s_waitcnt lgkmcnt(0)
	ds_read2_b64 v[36:39], v61 offset1:70
	ds_read2_b64 v[44:47], v61 offset0:140 offset1:210
	ds_read2_b64 v[48:51], v66 offset0:24 offset1:94
	v_cmp_gt_u16_e64 s[0:1], 10, v90
                                        ; implicit-def: $vgpr40
                                        ; implicit-def: $vgpr52
                                        ; implicit-def: $vgpr54
	s_and_saveexec_b64 s[12:13], s[0:1]
	s_cbranch_execz .LBB0_9
; %bb.8:
	ds_read2_b64 v[28:31], v61 offset0:60 offset1:130
	ds_read2_b64 v[40:43], v66 offset0:84 offset1:154
	;; [unrolled: 1-line block ×3, first 2 shown]
	s_waitcnt lgkmcnt(2)
	v_mov_b32_e32 v53, v29
	s_waitcnt lgkmcnt(1)
	v_mov_b32_e32 v52, v41
	v_mov_b32_e32 v54, v43
.LBB0_9:
	s_or_b64 exec, exec, s[12:13]
	v_mad_u64_u32 v[12:13], s[12:13], v90, 40, s[10:11]
	global_load_dwordx4 v[24:27], v[12:13], off offset:480
	global_load_dwordx4 v[20:23], v[12:13], off offset:496
	global_load_dwordx2 v[64:65], v[12:13], off offset:512
	v_add_u32_e32 v12, 60, v90
	v_add_u32_e32 v13, -10, v90
	v_cndmask_b32_e64 v12, v13, v12, s[0:1]
	v_mul_hi_i32_i24_e32 v13, 40, v12
	v_mul_i32_i24_e32 v12, 40, v12
	v_lshl_add_u64 v[56:57], s[10:11], 0, v[12:13]
	global_load_dwordx4 v[12:15], v[56:57], off offset:480
	global_load_dwordx4 v[16:19], v[56:57], off offset:496
	global_load_dwordx2 v[62:63], v[56:57], off offset:512
	v_mov_b32_e32 v29, v53
	s_mov_b32 s10, 0x3f5db3d7
	s_mov_b32 s12, 0.5
	s_mov_b32 s13, s10
	s_mov_b32 s15, 0xbf5db3d7
	;; [unrolled: 1-line block ×3, first 2 shown]
	s_waitcnt vmcnt(5)
	v_mov_b32_e32 v56, v27
	s_waitcnt vmcnt(4) lgkmcnt(1)
	v_pk_mul_f32 v[58:59], v[46:47], v[20:21] op_sel:[0,1]
	v_mov_b32_e32 v68, v23
	s_waitcnt vmcnt(3) lgkmcnt(0)
	v_pk_mul_f32 v[70:71], v[50:51], v[64:65] op_sel:[0,1]
	v_pk_mul_f32 v[72:73], v[38:39], v[24:25] op_sel:[0,1]
	v_pk_mul_f32 v[56:57], v[44:45], v[56:57] op_sel_hi:[1,0]
	v_pk_fma_f32 v[74:75], v[46:47], v[20:21], v[58:59] op_sel:[0,0,1] op_sel_hi:[1,1,0] neg_lo:[0,0,1] neg_hi:[0,0,1]
	v_pk_fma_f32 v[46:47], v[46:47], v[20:21], v[58:59] op_sel:[0,0,1] op_sel_hi:[1,0,0]
	v_pk_mul_f32 v[58:59], v[48:49], v[68:69] op_sel_hi:[1,0]
	v_pk_fma_f32 v[68:69], v[50:51], v[64:65], v[70:71] op_sel:[0,0,1] op_sel_hi:[1,1,0] neg_lo:[0,0,1] neg_hi:[0,0,1]
	v_pk_fma_f32 v[50:51], v[50:51], v[64:65], v[70:71] op_sel:[0,0,1] op_sel_hi:[1,0,0]
	v_pk_fma_f32 v[70:71], v[38:39], v[24:25], v[72:73] op_sel:[0,0,1] op_sel_hi:[1,1,0] neg_lo:[0,0,1] neg_hi:[0,0,1]
	v_pk_fma_f32 v[38:39], v[38:39], v[24:25], v[72:73] op_sel:[0,0,1] op_sel_hi:[1,0,0]
	;; [unrolled: 2-line block ×4, first 2 shown]
	v_mov_b32_e32 v71, v39
	v_mov_b32_e32 v75, v47
	;; [unrolled: 1-line block ×3, first 2 shown]
	s_waitcnt vmcnt(2)
	v_pk_mul_f32 v[38:39], v[32:33], v[14:15] op_sel:[1,0]
	s_waitcnt vmcnt(1)
	v_pk_mul_f32 v[50:51], v[52:53], v[18:19] op_sel_hi:[0,1]
	v_pk_mul_f32 v[46:47], v[34:35], v[16:17] op_sel:[1,0]
	s_waitcnt vmcnt(0)
	v_pk_mul_f32 v[52:53], v[54:55], v[62:63] op_sel_hi:[0,1]
	v_mov_b32_e32 v73, v45
	v_mov_b32_e32 v57, v49
	v_pk_add_f32 v[44:45], v[74:75], v[68:69]
	v_pk_add_f32 v[48:49], v[70:71], v[74:75]
	v_pk_add_f32 v[54:55], v[74:75], v[68:69] neg_lo:[0,1] neg_hi:[0,1]
	v_pk_mul_f32 v[58:59], v[30:31], v[12:13] op_sel:[1,0]
	v_pk_fma_f32 v[74:75], v[32:33], v[14:15], v[38:39] op_sel:[0,0,1] op_sel_hi:[1,1,0] neg_lo:[0,0,1] neg_hi:[0,0,1]
	v_pk_fma_f32 v[32:33], v[32:33], v[14:15], v[38:39] op_sel:[0,0,1] op_sel_hi:[0,1,0]
	v_pk_fma_f32 v[76:77], v[40:41], v[18:19], v[50:51] op_sel:[0,0,1] op_sel_hi:[1,1,0] neg_lo:[0,0,1] neg_hi:[0,0,1]
	v_pk_fma_f32 v[40:41], v[40:41], v[18:19], v[50:51] op_sel:[0,0,1] op_sel_hi:[0,1,0]
	v_pk_fma_f32 v[38:39], v[34:35], v[16:17], v[46:47] op_sel:[0,0,1] op_sel_hi:[1,1,0] neg_lo:[0,0,1] neg_hi:[0,0,1]
	v_pk_fma_f32 v[34:35], v[34:35], v[16:17], v[46:47] op_sel:[0,0,1] op_sel_hi:[0,1,0]
	v_pk_fma_f32 v[78:79], v[42:43], v[62:63], v[52:53] op_sel:[0,0,1] op_sel_hi:[1,1,0] neg_lo:[0,0,1] neg_hi:[0,0,1]
	v_pk_fma_f32 v[42:43], v[42:43], v[62:63], v[52:53] op_sel:[0,0,1] op_sel_hi:[0,1,0]
	v_pk_fma_f32 v[44:45], v[44:45], 0.5, v[70:71] op_sel_hi:[1,0,1] neg_lo:[1,0,0] neg_hi:[1,0,0]
	v_pk_fma_f32 v[52:53], v[30:31], v[12:13], v[58:59] op_sel:[0,0,1] op_sel_hi:[1,1,0] neg_lo:[0,0,1] neg_hi:[0,0,1]
	v_pk_fma_f32 v[30:31], v[30:31], v[12:13], v[58:59] op_sel:[0,0,1] op_sel_hi:[0,1,0]
	v_pk_add_f32 v[50:51], v[72:73], v[56:57]
	v_pk_add_f32 v[58:59], v[72:73], v[56:57] neg_lo:[0,1] neg_hi:[0,1]
	v_mov_b32_e32 v75, v33
	v_mov_b32_e32 v77, v41
	v_pk_add_f32 v[46:47], v[48:49], v[68:69]
	v_pk_add_f32 v[48:49], v[36:37], v[72:73]
	v_mov_b32_e32 v39, v35
	v_pk_fma_f32 v[32:33], v[50:51], 0.5, v[36:37] op_sel_hi:[1,0,1] neg_lo:[1,0,0] neg_hi:[1,0,0]
	v_pk_mul_f32 v[34:35], v[58:59], s[10:11] op_sel_hi:[1,0]
	v_pk_fma_f32 v[36:37], v[54:55], s[10:11], v[44:45] op_sel:[0,0,1] op_sel_hi:[1,0,0]
	v_pk_fma_f32 v[40:41], v[54:55], s[10:11], v[44:45] op_sel:[0,0,1] op_sel_hi:[1,0,0] neg_lo:[1,0,0] neg_hi:[1,0,0]
	v_pk_add_f32 v[44:45], v[74:75], v[76:77] neg_lo:[0,1] neg_hi:[0,1]
	v_mov_b32_e32 v53, v31
	v_pk_add_f32 v[30:31], v[48:49], v[56:57]
	v_pk_add_f32 v[48:49], v[32:33], v[34:35] op_sel:[0,1] op_sel_hi:[1,0]
	v_pk_add_f32 v[32:33], v[32:33], v[34:35] op_sel:[0,1] op_sel_hi:[1,0] neg_lo:[0,1] neg_hi:[0,1]
	v_mov_b32_e32 v34, v36
	v_pk_mul_f32 v[36:37], v[36:37], s[12:13] op_sel:[1,0]
	v_pk_mul_f32 v[44:45], v[44:45], s[10:11] op_sel_hi:[1,0]
	s_mov_b32 s11, s12
	v_mov_b32_e32 v35, v41
	v_mov_b32_e32 v50, v48
	;; [unrolled: 1-line block ×4, first 2 shown]
	v_pk_fma_f32 v[48:49], v[40:41], s[10:11], v[36:37]
	v_pk_fma_f32 v[36:37], v[40:41], s[10:11], v[36:37] op_sel_hi:[0,1,1] neg_lo:[0,0,1] neg_hi:[0,0,1]
	v_mov_b32_e32 v79, v43
	v_pk_add_f32 v[42:43], v[74:75], v[76:77]
	v_mov_b32_e32 v49, v37
	v_pk_mul_f32 v[36:37], v[34:35], 0.5 op_sel_hi:[1,0]
	v_pk_fma_f32 v[42:43], v[42:43], 0.5, v[28:29] op_sel_hi:[1,0,1] neg_lo:[1,0,0] neg_hi:[1,0,0]
	v_pk_fma_f32 v[34:35], v[34:35], s[14:15], v[36:37] op_sel:[0,0,1] op_sel_hi:[1,1,0] neg_lo:[0,0,1] neg_hi:[0,0,1]
	v_pk_add_f32 v[40:41], v[30:31], v[46:47]
	v_pk_add_f32 v[46:47], v[30:31], v[46:47] neg_lo:[0,1] neg_hi:[0,1]
	v_pk_add_f32 v[30:31], v[38:39], v[78:79]
	v_pk_add_f32 v[54:55], v[42:43], v[44:45] op_sel:[0,1] op_sel_hi:[1,0]
	v_pk_add_f32 v[68:69], v[42:43], v[44:45] op_sel:[0,1] op_sel_hi:[1,0] neg_lo:[0,1] neg_hi:[0,1]
	v_pk_add_f32 v[44:45], v[32:33], v[34:35]
	v_pk_add_f32 v[42:43], v[50:51], v[48:49]
	v_pk_add_f32 v[48:49], v[50:51], v[48:49] neg_lo:[0,1] neg_hi:[0,1]
	v_pk_add_f32 v[50:51], v[32:33], v[34:35] neg_lo:[0,1] neg_hi:[0,1]
	v_pk_fma_f32 v[30:31], v[30:31], 0.5, v[52:53] op_sel_hi:[1,0,1] neg_lo:[1,0,0] neg_hi:[1,0,0]
	v_pk_add_f32 v[32:33], v[38:39], v[78:79] neg_lo:[0,1] neg_hi:[0,1]
	v_pk_add_f32 v[34:35], v[52:53], v[38:39]
	v_pk_fma_f32 v[36:37], v[32:33], s[10:11], v[30:31] op_sel:[0,0,1] op_sel_hi:[1,0,0]
	v_pk_fma_f32 v[30:31], v[32:33], s[10:11], v[30:31] op_sel:[0,0,1] op_sel_hi:[1,0,0] neg_lo:[1,0,0] neg_hi:[1,0,0]
	v_mov_b32_e32 v32, v36
	v_pk_mul_f32 v[36:37], v[36:37], s[12:13] op_sel:[1,0]
	v_mov_b32_e32 v33, v31
	v_pk_fma_f32 v[38:39], v[30:31], s[10:11], v[36:37]
	v_pk_fma_f32 v[30:31], v[30:31], s[10:11], v[36:37] op_sel_hi:[0,1,1] neg_lo:[0,0,1] neg_hi:[0,0,1]
	v_pk_add_f32 v[28:29], v[28:29], v[74:75]
	v_mov_b32_e32 v39, v31
	v_pk_mul_f32 v[30:31], v[32:33], 0.5 op_sel_hi:[1,0]
	v_mov_b32_e32 v70, v54
	v_mov_b32_e32 v71, v69
	v_pk_add_f32 v[34:35], v[34:35], v[78:79]
	v_pk_add_f32 v[28:29], v[28:29], v[76:77]
	v_mov_b32_e32 v69, v55
	v_pk_fma_f32 v[30:31], v[32:33], s[14:15], v[30:31] op_sel:[0,0,1] op_sel_hi:[1,1,0] neg_lo:[0,0,1] neg_hi:[0,0,1]
	v_pk_add_f32 v[52:53], v[28:29], v[34:35]
	v_pk_add_f32 v[54:55], v[70:71], v[38:39]
	;; [unrolled: 1-line block ×3, first 2 shown]
	v_pk_add_f32 v[58:59], v[28:29], v[34:35] neg_lo:[0,1] neg_hi:[0,1]
	v_pk_add_f32 v[28:29], v[70:71], v[38:39] neg_lo:[0,1] neg_hi:[0,1]
	;; [unrolled: 1-line block ×3, first 2 shown]
	ds_write2_b64 v61, v[40:41], v[42:43] offset1:70
	ds_write2_b64 v61, v[44:45], v[46:47] offset0:140 offset1:210
	ds_write2_b64 v66, v[48:49], v[50:51] offset0:24 offset1:94
	s_and_saveexec_b64 s[10:11], s[0:1]
	s_cbranch_execz .LBB0_11
; %bb.10:
	v_add_u32_e32 v32, 0x400, v61
	ds_write2_b64 v32, v[56:57], v[58:59] offset0:72 offset1:142
	v_add_u32_e32 v32, 0x800, v61
	ds_write2_b64 v61, v[52:53], v[54:55] offset0:60 offset1:130
	ds_write2_b64 v32, v[28:29], v[30:31] offset0:84 offset1:154
.LBB0_11:
	s_or_b64 exec, exec, s[10:11]
	s_waitcnt lgkmcnt(0)
	; wave barrier
	s_waitcnt lgkmcnt(0)
	s_and_saveexec_b64 s[10:11], vcc
	s_cbranch_execz .LBB0_13
; %bb.12:
	global_load_dwordx2 v[32:33], v61, s[2:3] offset:3360
	s_add_u32 s12, s2, 0xd20
	s_addc_u32 s13, s3, 0
	global_load_dwordx2 v[66:67], v61, s[12:13] offset:336
	global_load_dwordx2 v[68:69], v61, s[12:13] offset:672
	;; [unrolled: 1-line block ×9, first 2 shown]
	ds_read_b64 v[34:35], v61
	s_waitcnt vmcnt(9) lgkmcnt(0)
	v_mul_f32_e32 v36, v35, v33
	v_mul_f32_e32 v37, v34, v33
	v_fma_f32 v36, v34, v32, -v36
	v_fmac_f32_e32 v37, v35, v32
	ds_write_b64 v61, v[36:37]
	ds_read2_b64 v[32:35], v61 offset0:42 offset1:84
	ds_read2_b64 v[36:39], v61 offset0:126 offset1:168
	s_waitcnt vmcnt(8) lgkmcnt(1)
	v_mul_f32_e32 v84, v33, v67
	v_mul_f32_e32 v85, v32, v67
	s_waitcnt vmcnt(7)
	v_mul_f32_e32 v86, v35, v69
	v_mul_f32_e32 v67, v34, v69
	s_waitcnt vmcnt(6) lgkmcnt(0)
	v_mul_f32_e32 v87, v37, v71
	v_mul_f32_e32 v69, v36, v71
	s_waitcnt vmcnt(5)
	v_mul_f32_e32 v88, v39, v73
	v_mul_f32_e32 v71, v38, v73
	v_fma_f32 v84, v32, v66, -v84
	v_fmac_f32_e32 v85, v33, v66
	v_fma_f32 v66, v34, v68, -v86
	v_fmac_f32_e32 v67, v35, v68
	v_fma_f32 v68, v36, v70, -v87
	v_fmac_f32_e32 v69, v37, v70
	v_fma_f32 v70, v38, v72, -v88
	v_fmac_f32_e32 v71, v39, v72
	ds_write2_b64 v61, v[84:85], v[66:67] offset0:42 offset1:84
	ds_write2_b64 v61, v[68:69], v[70:71] offset0:126 offset1:168
	ds_read_b64 v[32:33], v61 offset:1680
	v_add_u32_e32 v84, 0x400, v61
	s_waitcnt vmcnt(4) lgkmcnt(0)
	v_mul_f32_e32 v34, v33, v75
	v_mul_f32_e32 v35, v32, v75
	v_fma_f32 v34, v32, v74, -v34
	v_fmac_f32_e32 v35, v33, v74
	ds_write_b64 v61, v[34:35] offset:1680
	ds_read2_b64 v[32:35], v84 offset0:124 offset1:166
	v_add_u32_e32 v74, 0x800, v61
	ds_read2_b64 v[36:39], v74 offset0:80 offset1:122
	s_waitcnt vmcnt(3) lgkmcnt(1)
	v_mul_f32_e32 v66, v33, v77
	v_mul_f32_e32 v67, v32, v77
	s_waitcnt vmcnt(2)
	v_mul_f32_e32 v68, v35, v79
	v_mul_f32_e32 v69, v34, v79
	s_waitcnt vmcnt(1) lgkmcnt(0)
	v_mul_f32_e32 v70, v37, v81
	v_mul_f32_e32 v71, v36, v81
	s_waitcnt vmcnt(0)
	v_mul_f32_e32 v72, v39, v83
	v_mul_f32_e32 v73, v38, v83
	v_fma_f32 v66, v32, v76, -v66
	v_fmac_f32_e32 v67, v33, v76
	v_fma_f32 v68, v34, v78, -v68
	v_fmac_f32_e32 v69, v35, v78
	;; [unrolled: 2-line block ×4, first 2 shown]
	ds_write2_b64 v84, v[66:67], v[68:69] offset0:124 offset1:166
	ds_write2_b64 v74, v[70:71], v[72:73] offset0:80 offset1:122
.LBB0_13:
	s_or_b64 exec, exec, s[10:11]
	s_waitcnt lgkmcnt(0)
	; wave barrier
	s_waitcnt lgkmcnt(0)
	s_and_saveexec_b64 s[10:11], vcc
	s_cbranch_execz .LBB0_15
; %bb.14:
	v_add_u32_e32 v32, 0x400, v61
	ds_read2_b64 v[40:43], v61 offset1:42
	ds_read2_b64 v[44:47], v61 offset0:84 offset1:126
	ds_read2_b64 v[48:51], v61 offset0:168 offset1:210
	;; [unrolled: 1-line block ×3, first 2 shown]
	v_add_u32_e32 v32, 0x800, v61
	ds_read2_b64 v[56:59], v32 offset0:80 offset1:122
.LBB0_15:
	s_or_b64 exec, exec, s[10:11]
	s_waitcnt lgkmcnt(3)
	v_mov_b32_e32 v76, v46
	s_waitcnt lgkmcnt(0)
	v_mov_b32_e32 v77, v58
	v_mov_b32_e32 v78, v50
	;; [unrolled: 1-line block ×3, first 2 shown]
	v_pk_add_f32 v[70:71], v[50:51], v[54:55]
	v_pk_add_f32 v[66:67], v[76:77], v[78:79] neg_lo:[0,1] neg_hi:[0,1]
	v_fma_f32 v93, -0.5, v70, v42
	v_mov_b32_e32 v70, v67
	v_pk_add_f32 v[74:75], v[50:51], v[54:55] neg_lo:[0,1] neg_hi:[0,1]
	v_pk_add_f32 v[66:67], v[66:67], v[70:71]
	v_pk_add_f32 v[32:33], v[46:47], v[58:59] neg_lo:[0,1] neg_hi:[0,1]
	v_mov_b32_e32 v67, v75
	s_mov_b32 s11, 0x3f167918
	s_mov_b32 s10, 0x3e9e377a
	v_pk_mul_f32 v[66:67], v[66:67], s[10:11]
	v_fmamk_f32 v70, v33, 0x3f737871, v93
	v_add_f32_e32 v70, v67, v70
	v_pk_add_f32 v[76:77], v[78:79], v[76:77] neg_lo:[0,1] neg_hi:[0,1]
	v_add_f32_e32 v80, v66, v70
	v_mov_b32_e32 v70, v77
	v_pk_add_f32 v[82:83], v[46:47], v[58:59]
	v_pk_add_f32 v[76:77], v[76:77], v[70:71]
	v_fma_f32 v81, -0.5, v82, v42
	v_mov_b32_e32 v77, v33
	v_fmamk_f32 v82, v75, 0x3f737871, v81
	v_pk_mul_f32 v[76:77], v[76:77], s[10:11]
	v_fmac_f32_e32 v81, 0xbf737871, v75
	v_sub_f32_e32 v70, v82, v77
	v_add_f32_e32 v78, v76, v70
	v_add_f32_e32 v70, v77, v81
	v_mov_b32_e32 v84, v47
	v_mov_b32_e32 v85, v59
	;; [unrolled: 1-line block ×4, first 2 shown]
	v_add_f32_e32 v76, v76, v70
	v_fma_f32 v94, -0.5, v71, v43
	v_pk_add_f32 v[70:71], v[84:85], v[86:87] neg_lo:[0,1] neg_hi:[0,1]
	v_fmamk_f32 v75, v32, 0xbf737871, v94
	v_mov_b32_e32 v82, v71
	v_pk_add_f32 v[70:71], v[70:71], v[82:83]
	v_pk_add_f32 v[36:37], v[48:49], v[52:53] neg_lo:[0,1] neg_hi:[0,1]
	v_mov_b32_e32 v71, v74
	v_pk_mul_f32 v[70:71], v[70:71], s[10:11]
	v_pk_add_f32 v[38:39], v[56:57], v[44:45]
	v_sub_f32_e32 v75, v75, v71
	v_add_f32_e32 v96, v70, v75
	v_fma_f32 v75, -0.5, v83, v43
	v_pk_add_f32 v[82:83], v[86:87], v[84:85] neg_lo:[0,1] neg_hi:[0,1]
	v_fmamk_f32 v77, v74, 0xbf737871, v75
	v_mov_b32_e32 v84, v83
	v_pk_add_f32 v[82:83], v[82:83], v[84:85]
	v_fmac_f32_e32 v75, 0x3f737871, v74
	v_mov_b32_e32 v83, v32
	v_pk_mul_f32 v[82:83], v[82:83], s[10:11]
	s_mov_b32 s12, 0x3f737871
	v_add_f32_e32 v77, v83, v77
	v_sub_f32_e32 v74, v75, v83
	v_pk_add_f32 v[34:35], v[44:45], v[56:57] neg_lo:[0,1] neg_hi:[0,1]
	v_pk_add_f32 v[68:69], v[48:49], v[44:45] neg_lo:[0,1] neg_hi:[0,1]
	;; [unrolled: 1-line block ×3, first 2 shown]
	v_add_f32_e32 v84, v82, v77
	v_add_f32_e32 v82, v82, v74
	v_pk_fma_f32 v[38:39], v[38:39], 0.5, v[40:41] op_sel_hi:[1,0,1] neg_lo:[1,0,0] neg_hi:[1,0,0]
	v_pk_mul_f32 v[74:75], v[36:37], s[12:13] op_sel_hi:[1,0]
	s_mov_b32 s14, s11
	v_pk_mul_f32 v[86:87], v[34:35], s[14:15] op_sel_hi:[1,0]
	v_pk_add_f32 v[88:89], v[72:73], v[68:69]
	v_pk_add_f32 v[68:69], v[38:39], v[74:75] op_sel:[0,1] op_sel_hi:[1,0]
	v_pk_add_f32 v[38:39], v[38:39], v[74:75] op_sel:[0,1] op_sel_hi:[1,0] neg_lo:[0,1] neg_hi:[0,1]
	v_pk_add_f32 v[74:75], v[68:69], v[86:87] op_sel:[0,1] op_sel_hi:[1,0] neg_lo:[0,1] neg_hi:[0,1]
	v_pk_add_f32 v[38:39], v[38:39], v[86:87] op_sel:[0,1] op_sel_hi:[1,0]
	s_mov_b32 s13, s10
	v_mov_b32_e32 v69, v39
	s_mov_b32 s16, s10
	s_mov_b32 s17, s12
	v_pk_mul_f32 v[84:85], v[84:85], s[12:13] op_sel_hi:[0,1]
	v_mov_b32_e32 v39, v75
	v_mov_b32_e32 v68, v74
	v_pk_fma_f32 v[72:73], v[78:79], s[16:17], v[84:85] neg_lo:[0,0,1] neg_hi:[0,0,1]
	v_pk_fma_f32 v[78:79], v[78:79], s[16:17], v[84:85] op_sel_hi:[0,1,1]
	v_pk_fma_f32 v[74:75], v[88:89], s[10:11], v[38:39] op_sel_hi:[1,0,1]
	s_mov_b32 s16, 0xbe9e377a
	v_pk_mul_f32 v[38:39], v[82:83], s[12:13] op_sel_hi:[0,1]
	v_pk_fma_f32 v[76:77], v[76:77], s[16:17], v[38:39] op_sel_hi:[0,1,1] neg_lo:[0,0,1] neg_hi:[0,0,1]
	v_pk_add_f32 v[38:39], v[52:53], v[48:49]
	v_pk_mul_f32 v[34:35], v[34:35], s[12:13] op_sel_hi:[1,0]
	v_pk_fma_f32 v[38:39], v[38:39], 0.5, v[40:41] op_sel_hi:[1,0,1] neg_lo:[1,0,0] neg_hi:[1,0,0]
	v_mov_b32_e32 v73, v79
	v_pk_mul_f32 v[86:87], v[36:37], s[14:15] op_sel_hi:[1,0]
	v_pk_add_f32 v[36:37], v[44:45], v[48:49] neg_lo:[0,1] neg_hi:[0,1]
	v_pk_add_f32 v[78:79], v[56:57], v[52:53] neg_lo:[0,1] neg_hi:[0,1]
	v_pk_add_f32 v[82:83], v[38:39], v[34:35] op_sel:[0,1] op_sel_hi:[1,0]
	v_pk_add_f32 v[84:85], v[38:39], v[34:35] op_sel:[0,1] op_sel_hi:[1,0] neg_lo:[0,1] neg_hi:[0,1]
	v_pk_fma_f32 v[68:69], v[88:89], s[10:11], v[68:69] op_sel_hi:[1,0,1]
	v_pk_add_f32 v[88:89], v[78:79], v[36:37]
	v_pk_add_f32 v[34:35], v[82:83], v[86:87] op_sel:[0,1] op_sel_hi:[1,0]
	v_pk_add_f32 v[36:37], v[84:85], v[86:87] op_sel:[0,1] op_sel_hi:[1,0] neg_lo:[0,1] neg_hi:[0,1]
	s_mov_b32 s12, 0xbf4f1bbd
	v_mov_b32_e32 v35, v37
	s_mov_b32 s14, 0xbf167918
	s_mov_b32 s15, s12
	v_pk_fma_f32 v[78:79], v[88:89], s[10:11], v[34:35] op_sel_hi:[1,0,1]
	s_mov_b32 s13, s11
	v_pk_mul_f32 v[34:35], v[96:97], s[14:15] op_sel_hi:[0,1]
	v_pk_fma_f32 v[80:81], v[80:81], s[12:13], v[34:35] op_sel_hi:[0,1,1]
	v_pk_add_f32 v[34:35], v[68:69], v[72:73] neg_lo:[0,1] neg_hi:[0,1]
	v_pk_add_f32 v[36:37], v[74:75], v[76:77] neg_lo:[0,1] neg_hi:[0,1]
	v_pk_add_f32 v[38:39], v[78:79], v[80:81] neg_lo:[0,1] neg_hi:[0,1]
	s_waitcnt lgkmcnt(0)
	; wave barrier
	s_and_saveexec_b64 s[12:13], vcc
	s_cbranch_execz .LBB0_17
; %bb.16:
	v_mul_f32_e32 v95, 0x3f737871, v33
	v_mul_f32_e32 v96, 0x3f737871, v32
	v_mov_b32_e32 v32, v87
	v_mov_b32_e32 v33, v86
	v_pk_mul_f32 v[86:87], v[88:89], s[10:11] op_sel_hi:[1,0]
	v_sub_f32_e32 v88, v93, v95
	v_pk_add_f32 v[40:41], v[44:45], v[40:41]
	v_sub_f32_e32 v67, v88, v67
	v_pk_add_f32 v[40:41], v[48:49], v[40:41]
	v_add_f32_e32 v66, v66, v67
	v_add_f32_e32 v67, v96, v94
	v_pk_add_f32 v[42:43], v[46:47], v[42:43]
	v_pk_add_f32 v[40:41], v[52:53], v[40:41]
	v_add_f32_e32 v67, v71, v67
	v_pk_add_f32 v[44:45], v[56:57], v[40:41]
	v_pk_add_f32 v[40:41], v[50:51], v[42:43]
	v_pk_add_f32 v[42:43], v[84:85], v[32:33] neg_lo:[0,1] neg_hi:[0,1]
	v_pk_add_f32 v[32:33], v[82:83], v[32:33]
	s_mov_b32 s10, 0x3f4f1bbd
	v_add_f32_e32 v70, v70, v67
	v_mov_b32_e32 v43, v33
	s_mov_b32 s14, s11
	s_mov_b32 s15, s10
	v_lshlrev_b32_e32 v67, 3, v91
	v_pk_add_f32 v[32:33], v[86:87], v[42:43]
	v_pk_mul_f32 v[42:43], v[70:71], s[14:15] op_sel_hi:[0,1]
	v_pk_add_f32 v[40:41], v[54:55], v[40:41]
	v_pk_fma_f32 v[48:49], v[66:67], s[10:11], v[42:43] neg_lo:[0,0,1] neg_hi:[0,0,1]
	v_pk_fma_f32 v[42:43], v[66:67], s[10:11], v[42:43] op_sel_hi:[0,1,1]
	v_pk_add_f32 v[46:47], v[58:59], v[40:41]
	v_mov_b32_e32 v49, v43
	v_pk_add_f32 v[40:41], v[46:47], v[44:45]
	v_pk_add_f32 v[42:43], v[32:33], v[48:49]
	ds_write_b128 v67, v[40:43]
	v_pk_add_f32 v[40:41], v[68:69], v[72:73]
	v_pk_add_f32 v[42:43], v[74:75], v[76:77]
	ds_write_b128 v67, v[40:43] offset:16
	v_pk_add_f32 v[40:41], v[78:79], v[80:81]
	v_pk_add_f32 v[42:43], v[44:45], v[46:47] neg_lo:[0,1] neg_hi:[0,1]
	v_pk_add_f32 v[32:33], v[32:33], v[48:49] neg_lo:[0,1] neg_hi:[0,1]
	ds_write_b128 v67, v[40:43] offset:32
	ds_write_b128 v67, v[32:35] offset:48
	ds_write_b128 v67, v[36:39] offset:64
.LBB0_17:
	s_or_b64 exec, exec, s[12:13]
	s_waitcnt lgkmcnt(0)
	; wave barrier
	s_waitcnt lgkmcnt(0)
	ds_read2_b64 v[48:51], v61 offset0:120 offset1:180
	v_mov_b32_e32 v52, v7
	v_mov_b32_e32 v46, v22
	;; [unrolled: 1-line block ×3, first 2 shown]
	ds_read2_b64 v[54:57], v61 offset1:60
	ds_read_b64 v[32:33], v61 offset:2880
	s_waitcnt lgkmcnt(2)
	v_pk_mul_f32 v[58:59], v[6:7], v[48:49]
	v_mov_b32_e32 v22, v49
	v_pk_mul_f32 v[48:49], v[52:53], v[48:49]
	v_add_u32_e32 v52, 0x400, v61
	ds_read2_b64 v[66:69], v52 offset0:112 offset1:172
	v_pk_fma_f32 v[6:7], v[6:7], v[22:23], v[48:49] neg_lo:[0,0,1] neg_hi:[0,0,1]
	v_mov_b32_e32 v22, v9
	v_pk_mul_f32 v[70:71], v[8:9], v[50:51] op_sel:[0,1] op_sel_hi:[1,0]
	v_pk_mul_f32 v[48:49], v[22:23], v[50:51] op_sel:[0,1] op_sel_hi:[1,0]
	v_mov_b32_e32 v7, v70
	v_pk_fma_f32 v[48:49], v[8:9], v[50:51], v[48:49]
	v_pk_fma_f32 v[8:9], v[8:9], v[50:51], v[6:7] op_sel:[0,1,0] op_sel_hi:[1,0,1] neg_lo:[1,0,0] neg_hi:[1,0,0]
	s_waitcnt lgkmcnt(0)
	v_pk_mul_f32 v[70:71], v[10:11], v[66:67] op_sel:[0,1] op_sel_hi:[1,0]
	v_mov_b32_e32 v8, v11
	v_pk_mul_f32 v[50:51], v[8:9], v[66:67] op_sel:[0,1] op_sel_hi:[1,0]
	v_mov_b32_e32 v7, v70
	v_pk_fma_f32 v[50:51], v[10:11], v[66:67], v[50:51]
	v_pk_fma_f32 v[10:11], v[10:11], v[66:67], v[6:7] op_sel:[0,1,0] op_sel_hi:[1,0,1] neg_lo:[1,0,0] neg_hi:[1,0,0]
	v_pk_mul_f32 v[66:67], v[0:1], v[68:69]
	v_mov_b32_e32 v70, v58
	v_mov_b32_e32 v71, v66
	;; [unrolled: 1-line block ×4, first 2 shown]
	v_pk_add_f32 v[58:59], v[70:71], v[66:67]
	v_mov_b32_e32 v8, v69
	v_pk_mul_f32 v[66:67], v[10:11], v[68:69]
	v_pk_mul_f32 v[68:69], v[4:5], v[56:57] op_sel:[1,0] op_sel_hi:[0,0]
	v_pk_fma_f32 v[70:71], v[4:5], v[56:57], v[68:69] op_sel:[0,1,0] neg_lo:[0,0,1] neg_hi:[0,0,1]
	v_pk_fma_f32 v[4:5], v[4:5], v[56:57], v[68:69] op_sel:[0,1,0]
	v_pk_mul_f32 v[56:57], v[2:3], v[32:33] op_sel:[1,0] op_sel_hi:[0,0]
	v_pk_fma_f32 v[0:1], v[0:1], v[8:9], v[66:67] neg_lo:[0,0,1] neg_hi:[0,0,1]
	v_mov_b32_e32 v8, v59
	v_pk_fma_f32 v[68:69], v[2:3], v[32:33], v[56:57] op_sel:[0,1,0] neg_lo:[0,0,1] neg_hi:[0,0,1]
	v_pk_fma_f32 v[2:3], v[2:3], v[32:33], v[56:57] op_sel:[0,1,0]
	v_pk_add_f32 v[66:67], v[58:59], v[8:9]
	v_mov_b32_e32 v4, v70
	v_mov_b32_e32 v2, v68
	;; [unrolled: 1-line block ×8, first 2 shown]
	v_pk_add_f32 v[32:33], v[70:71], v[68:69]
	v_pk_add_f32 v[56:57], v[4:5], v[2:3] neg_lo:[0,1] neg_hi:[0,1]
	v_pk_add_f32 v[58:59], v[6:7], v[0:1] neg_lo:[0,1] neg_hi:[0,1]
	v_pk_add_f32 v[0:1], v[48:49], v[50:51]
	v_pk_add_f32 v[2:3], v[8:9], v[10:11]
	v_mov_b32_e32 v4, v11
	v_mov_b32_e32 v5, v50
	;; [unrolled: 1-line block ×4, first 2 shown]
	v_pk_add_f32 v[4:5], v[4:5], v[6:7] neg_lo:[0,1] neg_hi:[0,1]
	v_mov_b32_e32 v67, v1
	v_mov_b32_e32 v6, v2
	;; [unrolled: 1-line block ×7, first 2 shown]
	s_mov_b32 s16, 0xbeae86e6
	v_pk_add_f32 v[8:9], v[66:67], v[6:7]
	v_pk_add_f32 v[10:11], v[10:11], v[32:33] neg_lo:[0,1] neg_hi:[0,1]
	v_pk_add_f32 v[32:33], v[2:3], v[0:1] neg_lo:[0,1] neg_hi:[0,1]
	v_mov_b32_e32 v50, v4
	v_mov_b32_e32 v51, v57
	;; [unrolled: 1-line block ×5, first 2 shown]
	s_mov_b32 s12, 0x3d64c772
	s_mov_b32 s17, 0x3f08b237
	v_pk_add_f32 v[48:49], v[4:5], v[58:59]
	v_pk_add_f32 v[50:51], v[50:51], v[68:69] neg_lo:[0,1] neg_hi:[0,1]
	v_mov_b32_e32 v68, v56
	v_mov_b32_e32 v5, v59
	v_pk_add_f32 v[0:1], v[0:1], v[8:9]
	s_mov_b32 s13, 0x3f4a47b2
	s_mov_b32 s18, s17
	;; [unrolled: 1-line block ×3, first 2 shown]
	v_pk_add_f32 v[4:5], v[68:69], v[4:5] neg_lo:[0,1] neg_hi:[0,1]
	v_pk_add_f32 v[8:9], v[54:55], v[0:1]
	s_mov_b32 s10, 0xbf955555
	v_pk_mul_f32 v[10:11], v[10:11], s[12:13]
	s_mov_b32 s14, s13
	s_mov_b32 s15, s12
	v_pk_mul_f32 v[50:51], v[50:51], s[18:19]
	v_pk_add_f32 v[2:3], v[48:49], v[56:57]
	v_pk_mul_f32 v[54:55], v[32:33], s[14:15]
	s_mov_b32 s12, 0xbee1c552
	v_pk_mul_f32 v[68:69], v[4:5], s[16:17]
	v_pk_fma_f32 v[0:1], v[0:1], s[10:11], v[8:9] op_sel_hi:[1,0,1]
	v_pk_fma_f32 v[32:33], v[32:33], s[14:15], v[10:11]
	v_pk_fma_f32 v[4:5], v[4:5], s[16:17], v[50:51]
	v_pk_add_f32 v[48:49], v[32:33], v[0:1]
	v_pk_fma_f32 v[4:5], v[2:3], s[12:13], v[4:5] op_sel_hi:[1,0,1]
	s_nop 0
	v_pk_add_f32 v[32:33], v[48:49], v[4:5] neg_lo:[0,1] neg_hi:[0,1]
	v_pk_add_f32 v[48:49], v[48:49], v[4:5]
	v_mov_b32_e32 v5, v33
	v_mov_b32_e32 v4, v48
	; wave barrier
	ds_write2_b64 v92, v[8:9], v[4:5] offset1:10
	v_pk_add_f32 v[4:5], v[66:67], v[6:7] neg_lo:[0,1] neg_hi:[0,1]
	v_pk_add_f32 v[6:7], v[58:59], v[56:57] neg_lo:[0,1] neg_hi:[0,1]
	s_mov_b32 s10, 0x3f3bfb3b
	s_mov_b32 s14, 0xbf5ff5aa
	v_mov_b32_e32 v8, v54
	v_mov_b32_e32 v9, v11
	;; [unrolled: 1-line block ×6, first 2 shown]
	v_pk_fma_f32 v[8:9], v[4:5], s[10:11], v[8:9] op_sel_hi:[1,0,1] neg_lo:[1,0,1] neg_hi:[1,0,1]
	v_pk_fma_f32 v[56:57], v[6:7], s[14:15], v[56:57] op_sel_hi:[1,0,1] neg_lo:[1,0,1] neg_hi:[1,0,1]
	;; [unrolled: 1-line block ×4, first 2 shown]
	v_pk_add_f32 v[8:9], v[8:9], v[0:1]
	v_pk_fma_f32 v[56:57], v[2:3], s[12:13], v[56:57] op_sel_hi:[1,0,1]
	v_pk_add_f32 v[0:1], v[4:5], v[0:1]
	v_pk_fma_f32 v[2:3], v[2:3], s[12:13], v[6:7] op_sel_hi:[1,0,1]
	v_pk_add_f32 v[58:59], v[8:9], v[56:57]
	v_pk_add_f32 v[8:9], v[8:9], v[56:57] neg_lo:[0,1] neg_hi:[0,1]
	v_pk_add_f32 v[4:5], v[0:1], v[2:3] neg_lo:[0,1] neg_hi:[0,1]
	v_pk_add_f32 v[0:1], v[0:1], v[2:3]
	v_mov_b32_e32 v56, v58
	v_mov_b32_e32 v57, v9
	;; [unrolled: 1-line block ×7, first 2 shown]
	v_add_u32_e32 v48, 0x800, v61
	ds_write2_b64 v92, v[56:57], v[2:3] offset0:20 offset1:30
	ds_write2_b64 v92, v[0:1], v[8:9] offset0:40 offset1:50
	ds_write_b64 v92, v[32:33] offset:480
	s_waitcnt lgkmcnt(0)
	; wave barrier
	s_waitcnt lgkmcnt(0)
	ds_read2_b64 v[0:3], v61 offset1:70
	ds_read2_b64 v[8:11], v61 offset0:140 offset1:210
	ds_read2_b64 v[4:7], v48 offset0:24 offset1:94
	v_mov_b32_e32 v44, v24
	v_mov_b32_e32 v45, v24
	;; [unrolled: 1-line block ×13, first 2 shown]
	s_and_saveexec_b64 s[10:11], s[0:1]
	s_cbranch_execz .LBB0_19
; %bb.18:
	ds_read2_b64 v[32:35], v61 offset0:60 offset1:130
	ds_read2_b64 v[36:39], v52 offset0:72 offset1:142
	;; [unrolled: 1-line block ×3, first 2 shown]
	s_waitcnt lgkmcnt(2)
	v_mov_b32_e32 v49, v33
.LBB0_19:
	s_or_b64 exec, exec, s[10:11]
	s_waitcnt lgkmcnt(2)
	v_pk_mul_f32 v[24:25], v[24:25], v[2:3]
	s_waitcnt lgkmcnt(1)
	v_pk_mul_f32 v[26:27], v[26:27], v[8:9]
	v_pk_mul_f32 v[20:21], v[20:21], v[10:11]
	v_pk_fma_f32 v[54:55], v[44:45], v[2:3], v[24:25] op_sel:[0,0,1] op_sel_hi:[1,1,0]
	v_pk_fma_f32 v[2:3], v[44:45], v[2:3], v[24:25] op_sel:[0,0,1] op_sel_hi:[1,1,0] neg_lo:[0,0,1] neg_hi:[0,0,1]
	v_pk_fma_f32 v[24:25], v[42:43], v[8:9], v[26:27] op_sel:[0,0,1] op_sel_hi:[1,1,0]
	v_pk_fma_f32 v[8:9], v[42:43], v[8:9], v[26:27] op_sel:[0,0,1] op_sel_hi:[1,1,0] neg_lo:[0,0,1] neg_hi:[0,0,1]
	s_waitcnt lgkmcnt(0)
	v_pk_mul_f32 v[22:23], v[22:23], v[4:5]
	v_mov_b32_e32 v25, v9
	v_pk_fma_f32 v[8:9], v[40:41], v[10:11], v[20:21] op_sel:[0,0,1] op_sel_hi:[1,1,0]
	v_pk_fma_f32 v[10:11], v[40:41], v[10:11], v[20:21] op_sel:[0,0,1] op_sel_hi:[1,1,0] neg_lo:[0,0,1] neg_hi:[0,0,1]
	v_pk_mul_f32 v[52:53], v[64:65], v[6:7]
	v_mov_b32_e32 v9, v11
	v_pk_fma_f32 v[10:11], v[46:47], v[4:5], v[22:23] op_sel:[0,0,1] op_sel_hi:[1,1,0]
	v_pk_fma_f32 v[4:5], v[46:47], v[4:5], v[22:23] op_sel:[0,0,1] op_sel_hi:[1,1,0] neg_lo:[0,0,1] neg_hi:[0,0,1]
	s_mov_b32 s12, 0.5
	v_mov_b32_e32 v11, v5
	v_pk_fma_f32 v[4:5], v[50:51], v[6:7], v[52:53] op_sel:[0,0,1] op_sel_hi:[1,1,0]
	v_pk_fma_f32 v[6:7], v[50:51], v[6:7], v[52:53] op_sel:[0,0,1] op_sel_hi:[1,1,0] neg_lo:[0,0,1] neg_hi:[0,0,1]
	v_mov_b32_e32 v55, v3
	v_mov_b32_e32 v5, v7
	v_pk_add_f32 v[6:7], v[0:1], v[24:25]
	v_pk_add_f32 v[20:21], v[8:9], v[4:5]
	s_mov_b32 s13, 0x3f5db3d7
	v_pk_add_f32 v[6:7], v[6:7], v[10:11]
	v_mov_b32_e32 v2, v54
	v_pk_add_f32 v[22:23], v[8:9], v[4:5] neg_lo:[0,1] neg_hi:[0,1]
	v_pk_add_f32 v[8:9], v[54:55], v[8:9]
	v_fmac_f32_e32 v3, -0.5, v21
	v_pk_add_f32 v[26:27], v[24:25], v[10:11]
	v_pk_add_f32 v[10:11], v[24:25], v[10:11] neg_lo:[0,1] neg_hi:[0,1]
	s_mov_b32 s14, s13
	v_fmac_f32_e32 v2, -0.5, v20
	v_pk_add_f32 v[4:5], v[8:9], v[4:5]
	v_fmamk_f32 v8, v22, 0x3f5db3d7, v3
	v_pk_mul_f32 v[10:11], v[10:11], s[14:15] op_sel_hi:[1,0]
	s_mov_b32 s15, s12
	v_fmamk_f32 v20, v23, 0xbf5db3d7, v2
	v_pk_fma_f32 v[0:1], -0.5, v[26:27], v[0:1] op_sel_hi:[0,1,1]
	v_pk_mul_f32 v[8:9], v[8:9], s[14:15] op_sel_hi:[0,1]
	v_pk_add_f32 v[24:25], v[0:1], v[10:11] op_sel:[0,1] op_sel_hi:[1,0] neg_lo:[0,1] neg_hi:[0,1]
	v_pk_add_f32 v[0:1], v[0:1], v[10:11] op_sel:[0,1] op_sel_hi:[1,0]
	v_pk_fma_f32 v[26:27], v[20:21], s[12:13], v[8:9] neg_lo:[0,0,1] neg_hi:[0,0,1]
	v_pk_fma_f32 v[8:9], v[20:21], s[12:13], v[8:9] op_sel_hi:[0,1,1]
	v_mov_b32_e32 v10, v24
	v_mov_b32_e32 v11, v1
	;; [unrolled: 1-line block ×3, first 2 shown]
	v_fmac_f32_e32 v2, 0x3f5db3d7, v23
	v_fmac_f32_e32 v3, 0xbf5db3d7, v22
	v_pk_add_f32 v[22:23], v[6:7], v[4:5]
	v_pk_add_f32 v[8:9], v[10:11], v[26:27]
	ds_write2_b64 v61, v[22:23], v[8:9] offset1:70
	v_mov_b32_e32 v8, v3
	s_mov_b32 s10, -0.5
	s_mov_b32 s11, s13
	v_pk_mul_f32 v[8:9], v[8:9], s[14:15] op_sel_hi:[0,1]
	v_pk_fma_f32 v[2:3], v[2:3], s[10:11], v[8:9] op_sel_hi:[0,1,1] neg_lo:[0,0,1] neg_hi:[0,0,1]
	v_mov_b32_e32 v1, v25
	v_pk_add_f32 v[8:9], v[0:1], v[2:3]
	v_pk_add_f32 v[4:5], v[6:7], v[4:5] neg_lo:[0,1] neg_hi:[0,1]
	ds_write2_b64 v61, v[8:9], v[4:5] offset0:140 offset1:210
	v_pk_add_f32 v[4:5], v[10:11], v[26:27] neg_lo:[0,1] neg_hi:[0,1]
	v_pk_add_f32 v[0:1], v[0:1], v[2:3] neg_lo:[0,1] neg_hi:[0,1]
	ds_write2_b64 v48, v[4:5], v[0:1] offset0:24 offset1:94
	s_and_saveexec_b64 s[16:17], s[0:1]
	s_cbranch_execz .LBB0_21
; %bb.20:
	v_pk_mul_f32 v[0:1], v[14:15], v[36:37] op_sel:[0,1]
	v_pk_mul_f32 v[2:3], v[18:19], v[28:29] op_sel:[0,1]
	v_pk_fma_f32 v[10:11], v[14:15], v[36:37], v[0:1] op_sel:[0,0,1] op_sel_hi:[1,1,0]
	v_pk_fma_f32 v[0:1], v[14:15], v[36:37], v[0:1] op_sel:[0,0,1] op_sel_hi:[1,0,0] neg_lo:[1,0,0] neg_hi:[1,0,0]
	v_pk_mul_f32 v[6:7], v[16:17], v[38:39] op_sel:[0,1]
	v_mov_b32_e32 v8, v31
	v_mov_b32_e32 v11, v1
	v_pk_fma_f32 v[0:1], v[18:19], v[28:29], v[2:3] op_sel:[0,0,1] op_sel_hi:[1,1,0]
	v_pk_fma_f32 v[2:3], v[18:19], v[28:29], v[2:3] op_sel:[0,0,1] op_sel_hi:[1,0,0] neg_lo:[1,0,0] neg_hi:[1,0,0]
	v_pk_mul_f32 v[8:9], v[62:63], v[8:9] op_sel_hi:[1,0]
	v_mov_b32_e32 v1, v3
	v_pk_fma_f32 v[2:3], v[16:17], v[38:39], v[6:7] op_sel:[0,0,1] op_sel_hi:[1,1,0]
	v_pk_fma_f32 v[6:7], v[16:17], v[38:39], v[6:7] op_sel:[0,0,1] op_sel_hi:[1,0,0] neg_lo:[1,0,0] neg_hi:[1,0,0]
	v_pk_mul_f32 v[4:5], v[12:13], v[34:35] op_sel:[0,1]
	v_mov_b32_e32 v3, v7
	v_pk_fma_f32 v[6:7], v[62:63], v[30:31], v[8:9] op_sel:[0,0,1] op_sel_hi:[1,1,0]
	v_pk_fma_f32 v[8:9], v[62:63], v[30:31], v[8:9] op_sel:[0,0,1] op_sel_hi:[1,0,0] neg_lo:[1,0,0] neg_hi:[1,0,0]
	v_pk_fma_f32 v[14:15], v[12:13], v[34:35], v[4:5] op_sel:[0,0,1] op_sel_hi:[1,0,0]
	v_mov_b32_e32 v7, v9
	v_pk_fma_f32 v[4:5], v[12:13], v[34:35], v[4:5] op_sel:[0,0,1] op_sel_hi:[1,0,0] neg_lo:[1,0,0] neg_hi:[1,0,0]
	v_pk_add_f32 v[8:9], v[2:3], v[6:7]
	v_mov_b32_e32 v4, v14
	v_mov_b32_e32 v33, v49
	;; [unrolled: 1-line block ×3, first 2 shown]
	v_fmac_f32_e32 v4, -0.5, v8
	v_pk_add_f32 v[12:13], v[2:3], v[6:7] neg_lo:[0,1] neg_hi:[0,1]
	v_fmac_f32_e32 v5, -0.5, v9
	v_fmamk_f32 v8, v13, 0x3f5db3d7, v4
	v_fmamk_f32 v16, v12, 0xbf5db3d7, v5
	v_fmac_f32_e32 v4, 0xbf5db3d7, v13
	v_fmac_f32_e32 v5, 0x3f5db3d7, v12
	v_pk_add_f32 v[12:13], v[32:33], v[10:11]
	v_pk_add_f32 v[2:3], v[14:15], v[2:3]
	;; [unrolled: 1-line block ×4, first 2 shown]
	v_pk_add_f32 v[0:1], v[10:11], v[0:1] neg_lo:[0,1] neg_hi:[0,1]
	s_mov_b32 s0, s13
	v_pk_fma_f32 v[14:15], -0.5, v[14:15], v[32:33] op_sel_hi:[0,1,1]
	v_pk_mul_f32 v[0:1], v[0:1], s[0:1] op_sel_hi:[1,0]
	v_pk_add_f32 v[2:3], v[2:3], v[6:7]
	v_pk_add_f32 v[10:11], v[14:15], v[0:1] op_sel:[0,1] op_sel_hi:[1,0] neg_lo:[0,1] neg_hi:[0,1]
	v_pk_add_f32 v[0:1], v[14:15], v[0:1] op_sel:[0,1] op_sel_hi:[1,0]
	v_mov_b32_e32 v14, v10
	v_mov_b32_e32 v10, v5
	v_pk_mul_f32 v[18:19], v[10:11], s[14:15] op_sel_hi:[0,1]
	v_pk_fma_f32 v[20:21], v[4:5], s[12:13], v[18:19] neg_lo:[0,0,1] neg_hi:[0,0,1]
	v_pk_fma_f32 v[4:5], v[4:5], s[12:13], v[18:19] op_sel_hi:[0,1,1]
	v_mov_b32_e32 v15, v1
	v_mov_b32_e32 v21, v5
	v_pk_add_f32 v[6:7], v[12:13], v[2:3]
	v_pk_add_f32 v[4:5], v[14:15], v[20:21]
	ds_write2_b64 v61, v[6:7], v[4:5] offset0:60 offset1:130
	v_pk_mul_f32 v[4:5], v[16:17], s[14:15] op_sel_hi:[0,1]
	v_pk_fma_f32 v[4:5], v[8:9], s[10:11], v[4:5] op_sel_hi:[0,1,1] neg_lo:[0,0,1] neg_hi:[0,0,1]
	v_mov_b32_e32 v1, v11
	v_pk_add_f32 v[6:7], v[0:1], v[4:5]
	v_pk_add_f32 v[2:3], v[12:13], v[2:3] neg_lo:[0,1] neg_hi:[0,1]
	v_add_u32_e32 v8, 0x400, v61
	ds_write2_b64 v8, v[6:7], v[2:3] offset0:72 offset1:142
	v_pk_add_f32 v[2:3], v[14:15], v[20:21] neg_lo:[0,1] neg_hi:[0,1]
	v_pk_add_f32 v[0:1], v[0:1], v[4:5] neg_lo:[0,1] neg_hi:[0,1]
	v_add_u32_e32 v4, 0x800, v61
	ds_write2_b64 v4, v[2:3], v[0:1] offset0:84 offset1:154
.LBB0_21:
	s_or_b64 exec, exec, s[16:17]
	s_waitcnt lgkmcnt(0)
	; wave barrier
	s_waitcnt lgkmcnt(0)
	s_and_b64 exec, exec, vcc
	s_cbranch_execz .LBB0_23
; %bb.22:
	global_load_dwordx2 v[12:13], v61, s[2:3]
	global_load_dwordx2 v[14:15], v61, s[2:3] offset:336
	global_load_dwordx2 v[16:17], v61, s[2:3] offset:672
	;; [unrolled: 1-line block ×4, first 2 shown]
	ds_read2_b64 v[0:3], v61 offset1:210
	ds_read2_b64 v[4:7], v61 offset0:42 offset1:84
	ds_read2_b64 v[8:11], v61 offset0:126 offset1:168
	global_load_dwordx2 v[28:29], v61, s[2:3] offset:1680
	global_load_dwordx2 v[30:31], v61, s[2:3] offset:2016
	global_load_dwordx2 v[32:33], v61, s[2:3] offset:2352
	global_load_dwordx2 v[34:35], v61, s[2:3] offset:2688
	global_load_dwordx2 v[36:37], v61, s[2:3] offset:3024
	v_mad_u64_u32 v[24:25], s[0:1], s6, v60, 0
	v_mov_b32_e32 v20, s8
	v_mov_b32_e32 v21, s9
	v_mad_u64_u32 v[26:27], s[8:9], s4, v90, 0
	v_mov_b32_e32 v38, v25
	v_mov_b32_e32 v40, v27
	v_mad_u64_u32 v[38:39], s[2:3], s7, v60, v[38:39]
	v_mad_u64_u32 v[40:41], s[2:3], s5, v90, v[40:41]
	v_mov_b32_e32 v25, v38
	v_mov_b32_e32 v27, v40
	v_lshl_add_u64 v[20:21], v[24:25], 3, v[20:21]
	v_mov_b32_e32 v42, 0x150
	v_lshl_add_u64 v[20:21], v[26:27], 3, v[20:21]
	s_mul_i32 s6, s5, 0x150
	v_mad_u64_u32 v[24:25], s[2:3], s4, v42, v[20:21]
	s_mov_b32 s0, 0x13813814
	v_add_u32_e32 v25, s6, v25
	s_mov_b32 s1, 0x3f638138
	v_mad_u64_u32 v[26:27], s[2:3], s4, v42, v[24:25]
	v_add_u32_e32 v27, s6, v27
	v_mad_u64_u32 v[38:39], s[2:3], s4, v42, v[26:27]
	v_add_u32_e32 v39, s6, v39
	s_waitcnt vmcnt(9) lgkmcnt(2)
	v_mul_f32_e32 v40, v1, v13
	v_mul_f32_e32 v13, v0, v13
	s_waitcnt vmcnt(8) lgkmcnt(1)
	v_mul_f32_e32 v41, v5, v15
	v_mul_f32_e32 v15, v4, v15
	s_waitcnt vmcnt(7)
	v_mul_f32_e32 v43, v7, v17
	v_mul_f32_e32 v17, v6, v17
	s_waitcnt vmcnt(6) lgkmcnt(0)
	v_mul_f32_e32 v44, v9, v19
	v_mul_f32_e32 v19, v8, v19
	v_fmac_f32_e32 v40, v0, v12
	v_fma_f32 v12, v12, v1, -v13
	v_fmac_f32_e32 v41, v4, v14
	v_fma_f32 v13, v14, v5, -v15
	;; [unrolled: 2-line block ×4, first 2 shown]
	v_cvt_f64_f32_e32 v[0:1], v40
	v_cvt_f64_f32_e32 v[4:5], v12
	;; [unrolled: 1-line block ×8, first 2 shown]
	v_mul_f64 v[0:1], v[0:1], s[0:1]
	v_mul_f64 v[4:5], v[4:5], s[0:1]
	;; [unrolled: 1-line block ×8, first 2 shown]
	v_cvt_f32_f64_e32 v0, v[0:1]
	v_cvt_f32_f64_e32 v1, v[4:5]
	;; [unrolled: 1-line block ×8, first 2 shown]
	global_store_dwordx2 v[20:21], v[0:1], off
	global_store_dwordx2 v[24:25], v[4:5], off
	;; [unrolled: 1-line block ×4, first 2 shown]
	s_waitcnt vmcnt(9)
	v_mul_f32_e32 v0, v11, v23
	v_fmac_f32_e32 v0, v10, v22
	v_cvt_f64_f32_e32 v[0:1], v0
	v_mul_f64 v[0:1], v[0:1], s[0:1]
	v_cvt_f32_f64_e32 v0, v[0:1]
	v_mul_f32_e32 v1, v10, v23
	v_fma_f32 v1, v22, v11, -v1
	v_cvt_f64_f32_e32 v[4:5], v1
	v_mul_f64 v[4:5], v[4:5], s[0:1]
	v_cvt_f32_f64_e32 v1, v[4:5]
	v_mad_u64_u32 v[4:5], s[2:3], s4, v42, v[38:39]
	v_add_u32_e32 v5, s6, v5
	global_store_dwordx2 v[4:5], v[0:1], off
	s_waitcnt vmcnt(9)
	v_mul_f32_e32 v0, v3, v29
	v_fmac_f32_e32 v0, v2, v28
	v_cvt_f64_f32_e32 v[0:1], v0
	v_mul_f64 v[0:1], v[0:1], s[0:1]
	v_cvt_f32_f64_e32 v6, v[0:1]
	v_mul_f32_e32 v0, v2, v29
	v_fma_f32 v0, v28, v3, -v0
	v_cvt_f64_f32_e32 v[0:1], v0
	v_mul_f64 v[0:1], v[0:1], s[0:1]
	v_cvt_f32_f64_e32 v7, v[0:1]
	v_add_u32_e32 v0, 0x400, v61
	ds_read2_b64 v[0:3], v0 offset0:124 offset1:166
	v_mad_u64_u32 v[4:5], s[2:3], s4, v42, v[4:5]
	v_add_u32_e32 v5, s6, v5
	global_store_dwordx2 v[4:5], v[6:7], off
	s_waitcnt vmcnt(9) lgkmcnt(0)
	v_mul_f32_e32 v6, v1, v31
	v_fmac_f32_e32 v6, v0, v30
	v_mul_f32_e32 v0, v0, v31
	v_fma_f32 v0, v30, v1, -v0
	v_cvt_f64_f32_e32 v[6:7], v6
	v_cvt_f64_f32_e32 v[0:1], v0
	v_mul_f64 v[6:7], v[6:7], s[0:1]
	v_mul_f64 v[0:1], v[0:1], s[0:1]
	v_cvt_f32_f64_e32 v6, v[6:7]
	v_cvt_f32_f64_e32 v7, v[0:1]
	s_waitcnt vmcnt(8)
	v_mul_f32_e32 v0, v3, v33
	v_fmac_f32_e32 v0, v2, v32
	v_mad_u64_u32 v[4:5], s[2:3], s4, v42, v[4:5]
	v_cvt_f64_f32_e32 v[0:1], v0
	v_add_u32_e32 v5, s6, v5
	v_mul_f64 v[0:1], v[0:1], s[0:1]
	global_store_dwordx2 v[4:5], v[6:7], off
	v_cvt_f32_f64_e32 v6, v[0:1]
	v_mul_f32_e32 v0, v2, v33
	v_fma_f32 v0, v32, v3, -v0
	v_cvt_f64_f32_e32 v[0:1], v0
	v_mul_f64 v[0:1], v[0:1], s[0:1]
	v_cvt_f32_f64_e32 v7, v[0:1]
	v_add_u32_e32 v0, 0x800, v61
	ds_read2_b64 v[0:3], v0 offset0:80 offset1:122
	v_mad_u64_u32 v[4:5], s[2:3], s4, v42, v[4:5]
	v_add_u32_e32 v5, s6, v5
	global_store_dwordx2 v[4:5], v[6:7], off
	s_waitcnt vmcnt(9) lgkmcnt(0)
	v_mul_f32_e32 v6, v1, v35
	v_fmac_f32_e32 v6, v0, v34
	v_mul_f32_e32 v0, v0, v35
	v_fma_f32 v0, v34, v1, -v0
	v_cvt_f64_f32_e32 v[6:7], v6
	v_cvt_f64_f32_e32 v[0:1], v0
	v_mul_f64 v[6:7], v[6:7], s[0:1]
	v_mul_f64 v[0:1], v[0:1], s[0:1]
	v_cvt_f32_f64_e32 v6, v[6:7]
	v_cvt_f32_f64_e32 v7, v[0:1]
	v_mad_u64_u32 v[0:1], s[2:3], s4, v42, v[4:5]
	s_waitcnt vmcnt(8)
	v_mul_f32_e32 v4, v3, v37
	v_fmac_f32_e32 v4, v2, v36
	v_mul_f32_e32 v2, v2, v37
	v_fma_f32 v2, v36, v3, -v2
	v_add_u32_e32 v1, s6, v1
	v_cvt_f64_f32_e32 v[4:5], v4
	v_cvt_f64_f32_e32 v[2:3], v2
	global_store_dwordx2 v[0:1], v[6:7], off
	v_mul_f64 v[4:5], v[4:5], s[0:1]
	v_mul_f64 v[2:3], v[2:3], s[0:1]
	v_mad_u64_u32 v[0:1], s[0:1], s4, v42, v[0:1]
	v_cvt_f32_f64_e32 v4, v[4:5]
	v_cvt_f32_f64_e32 v5, v[2:3]
	v_add_u32_e32 v1, s6, v1
	global_store_dwordx2 v[0:1], v[4:5], off
.LBB0_23:
	s_endpgm
	.section	.rodata,"a",@progbits
	.p2align	6, 0x0
	.amdhsa_kernel bluestein_single_back_len420_dim1_sp_op_CI_CI
		.amdhsa_group_segment_fixed_size 3360
		.amdhsa_private_segment_fixed_size 0
		.amdhsa_kernarg_size 104
		.amdhsa_user_sgpr_count 2
		.amdhsa_user_sgpr_dispatch_ptr 0
		.amdhsa_user_sgpr_queue_ptr 0
		.amdhsa_user_sgpr_kernarg_segment_ptr 1
		.amdhsa_user_sgpr_dispatch_id 0
		.amdhsa_user_sgpr_kernarg_preload_length 0
		.amdhsa_user_sgpr_kernarg_preload_offset 0
		.amdhsa_user_sgpr_private_segment_size 0
		.amdhsa_uses_dynamic_stack 0
		.amdhsa_enable_private_segment 0
		.amdhsa_system_sgpr_workgroup_id_x 1
		.amdhsa_system_sgpr_workgroup_id_y 0
		.amdhsa_system_sgpr_workgroup_id_z 0
		.amdhsa_system_sgpr_workgroup_info 0
		.amdhsa_system_vgpr_workitem_id 0
		.amdhsa_next_free_vgpr 98
		.amdhsa_next_free_sgpr 22
		.amdhsa_accum_offset 100
		.amdhsa_reserve_vcc 1
		.amdhsa_float_round_mode_32 0
		.amdhsa_float_round_mode_16_64 0
		.amdhsa_float_denorm_mode_32 3
		.amdhsa_float_denorm_mode_16_64 3
		.amdhsa_dx10_clamp 1
		.amdhsa_ieee_mode 1
		.amdhsa_fp16_overflow 0
		.amdhsa_tg_split 0
		.amdhsa_exception_fp_ieee_invalid_op 0
		.amdhsa_exception_fp_denorm_src 0
		.amdhsa_exception_fp_ieee_div_zero 0
		.amdhsa_exception_fp_ieee_overflow 0
		.amdhsa_exception_fp_ieee_underflow 0
		.amdhsa_exception_fp_ieee_inexact 0
		.amdhsa_exception_int_div_zero 0
	.end_amdhsa_kernel
	.text
.Lfunc_end0:
	.size	bluestein_single_back_len420_dim1_sp_op_CI_CI, .Lfunc_end0-bluestein_single_back_len420_dim1_sp_op_CI_CI
                                        ; -- End function
	.section	.AMDGPU.csdata,"",@progbits
; Kernel info:
; codeLenInByte = 8240
; NumSgprs: 28
; NumVgprs: 98
; NumAgprs: 0
; TotalNumVgprs: 98
; ScratchSize: 0
; MemoryBound: 0
; FloatMode: 240
; IeeeMode: 1
; LDSByteSize: 3360 bytes/workgroup (compile time only)
; SGPRBlocks: 3
; VGPRBlocks: 12
; NumSGPRsForWavesPerEU: 28
; NumVGPRsForWavesPerEU: 98
; AccumOffset: 100
; Occupancy: 4
; WaveLimiterHint : 1
; COMPUTE_PGM_RSRC2:SCRATCH_EN: 0
; COMPUTE_PGM_RSRC2:USER_SGPR: 2
; COMPUTE_PGM_RSRC2:TRAP_HANDLER: 0
; COMPUTE_PGM_RSRC2:TGID_X_EN: 1
; COMPUTE_PGM_RSRC2:TGID_Y_EN: 0
; COMPUTE_PGM_RSRC2:TGID_Z_EN: 0
; COMPUTE_PGM_RSRC2:TIDIG_COMP_CNT: 0
; COMPUTE_PGM_RSRC3_GFX90A:ACCUM_OFFSET: 24
; COMPUTE_PGM_RSRC3_GFX90A:TG_SPLIT: 0
	.text
	.p2alignl 6, 3212836864
	.fill 256, 4, 3212836864
	.type	__hip_cuid_ed0b0486d587bb4e,@object ; @__hip_cuid_ed0b0486d587bb4e
	.section	.bss,"aw",@nobits
	.globl	__hip_cuid_ed0b0486d587bb4e
__hip_cuid_ed0b0486d587bb4e:
	.byte	0                               ; 0x0
	.size	__hip_cuid_ed0b0486d587bb4e, 1

	.ident	"AMD clang version 19.0.0git (https://github.com/RadeonOpenCompute/llvm-project roc-6.4.0 25133 c7fe45cf4b819c5991fe208aaa96edf142730f1d)"
	.section	".note.GNU-stack","",@progbits
	.addrsig
	.addrsig_sym __hip_cuid_ed0b0486d587bb4e
	.amdgpu_metadata
---
amdhsa.kernels:
  - .agpr_count:     0
    .args:
      - .actual_access:  read_only
        .address_space:  global
        .offset:         0
        .size:           8
        .value_kind:     global_buffer
      - .actual_access:  read_only
        .address_space:  global
        .offset:         8
        .size:           8
        .value_kind:     global_buffer
      - .actual_access:  read_only
        .address_space:  global
        .offset:         16
        .size:           8
        .value_kind:     global_buffer
      - .actual_access:  read_only
        .address_space:  global
        .offset:         24
        .size:           8
        .value_kind:     global_buffer
      - .actual_access:  read_only
        .address_space:  global
        .offset:         32
        .size:           8
        .value_kind:     global_buffer
      - .offset:         40
        .size:           8
        .value_kind:     by_value
      - .address_space:  global
        .offset:         48
        .size:           8
        .value_kind:     global_buffer
      - .address_space:  global
        .offset:         56
        .size:           8
        .value_kind:     global_buffer
      - .address_space:  global
        .offset:         64
        .size:           8
        .value_kind:     global_buffer
      - .address_space:  global
        .offset:         72
        .size:           8
        .value_kind:     global_buffer
      - .offset:         80
        .size:           4
        .value_kind:     by_value
      - .address_space:  global
        .offset:         88
        .size:           8
        .value_kind:     global_buffer
      - .address_space:  global
        .offset:         96
        .size:           8
        .value_kind:     global_buffer
    .group_segment_fixed_size: 3360
    .kernarg_segment_align: 8
    .kernarg_segment_size: 104
    .language:       OpenCL C
    .language_version:
      - 2
      - 0
    .max_flat_workgroup_size: 60
    .name:           bluestein_single_back_len420_dim1_sp_op_CI_CI
    .private_segment_fixed_size: 0
    .sgpr_count:     28
    .sgpr_spill_count: 0
    .symbol:         bluestein_single_back_len420_dim1_sp_op_CI_CI.kd
    .uniform_work_group_size: 1
    .uses_dynamic_stack: false
    .vgpr_count:     98
    .vgpr_spill_count: 0
    .wavefront_size: 64
amdhsa.target:   amdgcn-amd-amdhsa--gfx950
amdhsa.version:
  - 1
  - 2
...

	.end_amdgpu_metadata
